;; amdgpu-corpus repo=ROCm/rocFFT kind=compiled arch=gfx1030 opt=O3
	.text
	.amdgcn_target "amdgcn-amd-amdhsa--gfx1030"
	.amdhsa_code_object_version 6
	.protected	fft_rtc_back_len2002_factors_2_13_7_11_wgs_182_tpt_182_halfLds_dp_ip_CI_unitstride_sbrr_R2C_dirReg ; -- Begin function fft_rtc_back_len2002_factors_2_13_7_11_wgs_182_tpt_182_halfLds_dp_ip_CI_unitstride_sbrr_R2C_dirReg
	.globl	fft_rtc_back_len2002_factors_2_13_7_11_wgs_182_tpt_182_halfLds_dp_ip_CI_unitstride_sbrr_R2C_dirReg
	.p2align	8
	.type	fft_rtc_back_len2002_factors_2_13_7_11_wgs_182_tpt_182_halfLds_dp_ip_CI_unitstride_sbrr_R2C_dirReg,@function
fft_rtc_back_len2002_factors_2_13_7_11_wgs_182_tpt_182_halfLds_dp_ip_CI_unitstride_sbrr_R2C_dirReg: ; @fft_rtc_back_len2002_factors_2_13_7_11_wgs_182_tpt_182_halfLds_dp_ip_CI_unitstride_sbrr_R2C_dirReg
; %bb.0:
	s_mov_b64 s[46:47], s[2:3]
	s_mov_b64 s[44:45], s[0:1]
	s_clause 0x2
	s_load_dwordx4 s[8:11], s[4:5], 0x0
	s_load_dwordx2 s[2:3], s[4:5], 0x50
	s_load_dwordx2 s[12:13], s[4:5], 0x18
	v_mul_u32_u24_e32 v1, 0x169, v0
	v_mov_b32_e32 v3, 0
	s_add_u32 s44, s44, s7
	s_addc_u32 s45, s45, 0
	v_add_nc_u32_sdwa v5, s6, v1 dst_sel:DWORD dst_unused:UNUSED_PAD src0_sel:DWORD src1_sel:WORD_1
	v_mov_b32_e32 v1, 0
	v_mov_b32_e32 v6, v3
	;; [unrolled: 1-line block ×3, first 2 shown]
	s_waitcnt lgkmcnt(0)
	v_cmp_lt_u64_e64 s0, s[10:11], 2
	s_and_b32 vcc_lo, exec_lo, s0
	s_cbranch_vccnz .LBB0_8
; %bb.1:
	s_load_dwordx2 s[0:1], s[4:5], 0x10
	v_mov_b32_e32 v1, 0
	s_add_u32 s6, s12, 8
	v_mov_b32_e32 v2, 0
	s_addc_u32 s7, s13, 0
	s_mov_b64 s[16:17], 1
	s_waitcnt lgkmcnt(0)
	s_add_u32 s14, s0, 8
	s_addc_u32 s15, s1, 0
.LBB0_2:                                ; =>This Inner Loop Header: Depth=1
	s_load_dwordx2 s[18:19], s[14:15], 0x0
                                        ; implicit-def: $vgpr7_vgpr8
	s_mov_b32 s0, exec_lo
	s_waitcnt lgkmcnt(0)
	v_or_b32_e32 v4, s19, v6
	v_cmpx_ne_u64_e32 0, v[3:4]
	s_xor_b32 s1, exec_lo, s0
	s_cbranch_execz .LBB0_4
; %bb.3:                                ;   in Loop: Header=BB0_2 Depth=1
	v_cvt_f32_u32_e32 v4, s18
	v_cvt_f32_u32_e32 v7, s19
	s_sub_u32 s0, 0, s18
	s_subb_u32 s20, 0, s19
	v_fmac_f32_e32 v4, 0x4f800000, v7
	v_rcp_f32_e32 v4, v4
	v_mul_f32_e32 v4, 0x5f7ffffc, v4
	v_mul_f32_e32 v7, 0x2f800000, v4
	v_trunc_f32_e32 v7, v7
	v_fmac_f32_e32 v4, 0xcf800000, v7
	v_cvt_u32_f32_e32 v7, v7
	v_cvt_u32_f32_e32 v4, v4
	v_mul_lo_u32 v8, s0, v7
	v_mul_hi_u32 v9, s0, v4
	v_mul_lo_u32 v10, s20, v4
	v_add_nc_u32_e32 v8, v9, v8
	v_mul_lo_u32 v9, s0, v4
	v_add_nc_u32_e32 v8, v8, v10
	v_mul_hi_u32 v10, v4, v9
	v_mul_lo_u32 v11, v4, v8
	v_mul_hi_u32 v12, v4, v8
	v_mul_hi_u32 v13, v7, v9
	v_mul_lo_u32 v9, v7, v9
	v_mul_hi_u32 v14, v7, v8
	v_mul_lo_u32 v8, v7, v8
	v_add_co_u32 v10, vcc_lo, v10, v11
	v_add_co_ci_u32_e32 v11, vcc_lo, 0, v12, vcc_lo
	v_add_co_u32 v9, vcc_lo, v10, v9
	v_add_co_ci_u32_e32 v9, vcc_lo, v11, v13, vcc_lo
	v_add_co_ci_u32_e32 v10, vcc_lo, 0, v14, vcc_lo
	v_add_co_u32 v8, vcc_lo, v9, v8
	v_add_co_ci_u32_e32 v9, vcc_lo, 0, v10, vcc_lo
	v_add_co_u32 v4, vcc_lo, v4, v8
	v_add_co_ci_u32_e32 v7, vcc_lo, v7, v9, vcc_lo
	v_mul_hi_u32 v8, s0, v4
	v_mul_lo_u32 v10, s20, v4
	v_mul_lo_u32 v9, s0, v7
	v_add_nc_u32_e32 v8, v8, v9
	v_mul_lo_u32 v9, s0, v4
	v_add_nc_u32_e32 v8, v8, v10
	v_mul_hi_u32 v10, v4, v9
	v_mul_lo_u32 v11, v4, v8
	v_mul_hi_u32 v12, v4, v8
	v_mul_hi_u32 v13, v7, v9
	v_mul_lo_u32 v9, v7, v9
	v_mul_hi_u32 v14, v7, v8
	v_mul_lo_u32 v8, v7, v8
	v_add_co_u32 v10, vcc_lo, v10, v11
	v_add_co_ci_u32_e32 v11, vcc_lo, 0, v12, vcc_lo
	v_add_co_u32 v9, vcc_lo, v10, v9
	v_add_co_ci_u32_e32 v9, vcc_lo, v11, v13, vcc_lo
	v_add_co_ci_u32_e32 v10, vcc_lo, 0, v14, vcc_lo
	v_add_co_u32 v8, vcc_lo, v9, v8
	v_add_co_ci_u32_e32 v9, vcc_lo, 0, v10, vcc_lo
	v_add_co_u32 v4, vcc_lo, v4, v8
	v_add_co_ci_u32_e32 v11, vcc_lo, v7, v9, vcc_lo
	v_mul_hi_u32 v13, v5, v4
	v_mad_u64_u32 v[9:10], null, v6, v4, 0
	v_mad_u64_u32 v[7:8], null, v5, v11, 0
	;; [unrolled: 1-line block ×3, first 2 shown]
	v_add_co_u32 v4, vcc_lo, v13, v7
	v_add_co_ci_u32_e32 v7, vcc_lo, 0, v8, vcc_lo
	v_add_co_u32 v4, vcc_lo, v4, v9
	v_add_co_ci_u32_e32 v4, vcc_lo, v7, v10, vcc_lo
	v_add_co_ci_u32_e32 v7, vcc_lo, 0, v12, vcc_lo
	v_add_co_u32 v4, vcc_lo, v4, v11
	v_add_co_ci_u32_e32 v9, vcc_lo, 0, v7, vcc_lo
	v_mul_lo_u32 v10, s19, v4
	v_mad_u64_u32 v[7:8], null, s18, v4, 0
	v_mul_lo_u32 v11, s18, v9
	v_sub_co_u32 v7, vcc_lo, v5, v7
	v_add3_u32 v8, v8, v11, v10
	v_sub_nc_u32_e32 v10, v6, v8
	v_subrev_co_ci_u32_e64 v10, s0, s19, v10, vcc_lo
	v_add_co_u32 v11, s0, v4, 2
	v_add_co_ci_u32_e64 v12, s0, 0, v9, s0
	v_sub_co_u32 v13, s0, v7, s18
	v_sub_co_ci_u32_e32 v8, vcc_lo, v6, v8, vcc_lo
	v_subrev_co_ci_u32_e64 v10, s0, 0, v10, s0
	v_cmp_le_u32_e32 vcc_lo, s18, v13
	v_cmp_eq_u32_e64 s0, s19, v8
	v_cndmask_b32_e64 v13, 0, -1, vcc_lo
	v_cmp_le_u32_e32 vcc_lo, s19, v10
	v_cndmask_b32_e64 v14, 0, -1, vcc_lo
	v_cmp_le_u32_e32 vcc_lo, s18, v7
	;; [unrolled: 2-line block ×3, first 2 shown]
	v_cndmask_b32_e64 v15, 0, -1, vcc_lo
	v_cmp_eq_u32_e32 vcc_lo, s19, v10
	v_cndmask_b32_e64 v7, v15, v7, s0
	v_cndmask_b32_e32 v10, v14, v13, vcc_lo
	v_add_co_u32 v13, vcc_lo, v4, 1
	v_add_co_ci_u32_e32 v14, vcc_lo, 0, v9, vcc_lo
	v_cmp_ne_u32_e32 vcc_lo, 0, v10
	v_cndmask_b32_e32 v8, v14, v12, vcc_lo
	v_cndmask_b32_e32 v10, v13, v11, vcc_lo
	v_cmp_ne_u32_e32 vcc_lo, 0, v7
	v_cndmask_b32_e32 v8, v9, v8, vcc_lo
	v_cndmask_b32_e32 v7, v4, v10, vcc_lo
.LBB0_4:                                ;   in Loop: Header=BB0_2 Depth=1
	s_andn2_saveexec_b32 s0, s1
	s_cbranch_execz .LBB0_6
; %bb.5:                                ;   in Loop: Header=BB0_2 Depth=1
	v_cvt_f32_u32_e32 v4, s18
	s_sub_i32 s1, 0, s18
	v_rcp_iflag_f32_e32 v4, v4
	v_mul_f32_e32 v4, 0x4f7ffffe, v4
	v_cvt_u32_f32_e32 v4, v4
	v_mul_lo_u32 v7, s1, v4
	v_mul_hi_u32 v7, v4, v7
	v_add_nc_u32_e32 v4, v4, v7
	v_mul_hi_u32 v4, v5, v4
	v_mul_lo_u32 v7, v4, s18
	v_add_nc_u32_e32 v8, 1, v4
	v_sub_nc_u32_e32 v7, v5, v7
	v_subrev_nc_u32_e32 v9, s18, v7
	v_cmp_le_u32_e32 vcc_lo, s18, v7
	v_cndmask_b32_e32 v7, v7, v9, vcc_lo
	v_cndmask_b32_e32 v4, v4, v8, vcc_lo
	v_cmp_le_u32_e32 vcc_lo, s18, v7
	v_add_nc_u32_e32 v8, 1, v4
	v_cndmask_b32_e32 v7, v4, v8, vcc_lo
	v_mov_b32_e32 v8, v3
.LBB0_6:                                ;   in Loop: Header=BB0_2 Depth=1
	s_or_b32 exec_lo, exec_lo, s0
	s_load_dwordx2 s[0:1], s[6:7], 0x0
	v_mul_lo_u32 v4, v8, s18
	v_mul_lo_u32 v11, v7, s19
	v_mad_u64_u32 v[9:10], null, v7, s18, 0
	s_add_u32 s16, s16, 1
	s_addc_u32 s17, s17, 0
	s_add_u32 s6, s6, 8
	s_addc_u32 s7, s7, 0
	;; [unrolled: 2-line block ×3, first 2 shown]
	v_add3_u32 v4, v10, v11, v4
	v_sub_co_u32 v5, vcc_lo, v5, v9
	v_sub_co_ci_u32_e32 v4, vcc_lo, v6, v4, vcc_lo
	s_waitcnt lgkmcnt(0)
	v_mul_lo_u32 v6, s1, v5
	v_mul_lo_u32 v4, s0, v4
	v_mad_u64_u32 v[1:2], null, s0, v5, v[1:2]
	v_cmp_ge_u64_e64 s0, s[16:17], s[10:11]
	s_and_b32 vcc_lo, exec_lo, s0
	v_add3_u32 v2, v6, v2, v4
	s_cbranch_vccnz .LBB0_9
; %bb.7:                                ;   in Loop: Header=BB0_2 Depth=1
	v_mov_b32_e32 v5, v7
	v_mov_b32_e32 v6, v8
	s_branch .LBB0_2
.LBB0_8:
	v_mov_b32_e32 v8, v6
	v_mov_b32_e32 v7, v5
.LBB0_9:
	s_lshl_b64 s[0:1], s[10:11], 3
	v_mul_hi_u32 v3, 0x1681682, v0
	s_add_u32 s0, s12, s0
	s_addc_u32 s1, s13, s1
	s_load_dwordx2 s[4:5], s[4:5], 0x20
	s_load_dwordx2 s[0:1], s[0:1], 0x0
	v_mul_u32_u24_e32 v3, 0xb6, v3
	v_sub_nc_u32_e32 v56, v0, v3
	v_add_nc_u32_e32 v61, 0xb6, v56
	v_add_nc_u32_e32 v65, 0x16c, v56
	v_add_nc_u32_e32 v64, 0x222, v56
	v_add_nc_u32_e32 v63, 0x2d8, v56
	v_add_nc_u32_e32 v60, 0x38e, v56
	s_waitcnt lgkmcnt(0)
	v_cmp_gt_u64_e32 vcc_lo, s[4:5], v[7:8]
	v_mul_lo_u32 v3, s0, v8
	v_mul_lo_u32 v4, s1, v7
	v_mad_u64_u32 v[0:1], null, s0, v7, v[1:2]
	v_cmp_le_u64_e64 s0, s[4:5], v[7:8]
	v_add3_u32 v1, v4, v1, v3
	s_and_saveexec_b32 s1, s0
	s_xor_b32 s0, exec_lo, s1
; %bb.10:
	v_add_nc_u32_e32 v61, 0xb6, v56
	v_add_nc_u32_e32 v65, 0x16c, v56
	;; [unrolled: 1-line block ×5, first 2 shown]
; %bb.11:
	s_or_saveexec_b32 s1, s0
	v_lshlrev_b64 v[0:1], 4, v[0:1]
	buffer_store_dword v0, off, s[44:47], 0 ; 4-byte Folded Spill
	buffer_store_dword v1, off, s[44:47], 0 offset:4 ; 4-byte Folded Spill
	s_xor_b32 exec_lo, exec_lo, s1
	s_cbranch_execz .LBB0_13
; %bb.12:
	s_clause 0x1
	buffer_load_dword v2, off, s[44:47], 0
	buffer_load_dword v3, off, s[44:47], 0 offset:4
	v_mov_b32_e32 v57, 0
	v_lshl_add_u32 v44, v56, 4, 0
	v_lshlrev_b64 v[0:1], 4, v[56:57]
	s_waitcnt vmcnt(1)
	v_add_co_u32 v2, s0, s2, v2
	s_waitcnt vmcnt(0)
	v_add_co_ci_u32_e64 v3, s0, s3, v3, s0
	v_add_co_u32 v24, s0, v2, v0
	v_add_co_ci_u32_e64 v25, s0, v3, v1, s0
	v_add_co_u32 v4, s0, 0x800, v24
	;; [unrolled: 2-line block ×11, first 2 shown]
	v_add_co_ci_u32_e64 v41, s0, 0, v25, s0
	s_clause 0xa
	global_load_dwordx4 v[0:3], v[24:25], off
	global_load_dwordx4 v[4:7], v[4:5], off offset:864
	global_load_dwordx4 v[8:11], v[8:9], off offset:1728
	;; [unrolled: 1-line block ×10, first 2 shown]
	s_waitcnt vmcnt(10)
	ds_write_b128 v44, v[0:3]
	s_waitcnt vmcnt(9)
	ds_write_b128 v44, v[4:7] offset:2912
	s_waitcnt vmcnt(8)
	ds_write_b128 v44, v[8:11] offset:5824
	;; [unrolled: 2-line block ×10, first 2 shown]
.LBB0_13:
	s_or_b32 exec_lo, exec_lo, s1
	v_lshlrev_b32_e32 v62, 4, v56
	s_waitcnt lgkmcnt(0)
	s_waitcnt_vscnt null, 0x0
	s_barrier
	buffer_gl0_inv
	v_cmp_gt_u32_e64 s0, 0x5b, v56
	v_add_nc_u32_e32 v254, 0, v62
	ds_read_b128 v[0:3], v254 offset:16016
	ds_read_b128 v[20:23], v254
	ds_read_b128 v[32:35], v254 offset:2912
	ds_read_b128 v[4:7], v254 offset:18928
	;; [unrolled: 1-line block ×10, first 2 shown]
	s_waitcnt lgkmcnt(0)
	s_barrier
	buffer_gl0_inv
	v_add_f64 v[36:37], v[20:21], -v[0:1]
	v_add_f64 v[38:39], v[22:23], -v[2:3]
	;; [unrolled: 1-line block ×12, first 2 shown]
	v_fma_f64 v[24:25], v[20:21], 2.0, -v[36:37]
	v_fma_f64 v[26:27], v[22:23], 2.0, -v[38:39]
	;; [unrolled: 1-line block ×12, first 2 shown]
	v_add_nc_u32_e32 v52, v254, v62
	v_lshl_add_u32 v48, v61, 5, 0
	v_lshl_add_u32 v49, v65, 5, 0
	v_lshl_add_u32 v50, v64, 5, 0
	v_lshl_add_u32 v51, v63, 5, 0
	ds_write_b128 v52, v[36:39] offset:16
	ds_write_b128 v48, v[16:19] offset:16
	;; [unrolled: 1-line block ×5, first 2 shown]
	ds_write_b128 v52, v[24:27]
	ds_write_b128 v48, v[44:47]
	;; [unrolled: 1-line block ×5, first 2 shown]
	s_and_saveexec_b32 s1, s0
	s_cbranch_execz .LBB0_15
; %bb.14:
	v_lshl_add_u32 v48, v60, 5, 0
	ds_write_b128 v48, v[0:3]
	ds_write_b128 v48, v[8:11] offset:16
.LBB0_15:
	s_or_b32 exec_lo, exec_lo, s1
	v_cmp_gt_u32_e64 s1, 0x9a, v56
	s_waitcnt lgkmcnt(0)
	s_barrier
	buffer_gl0_inv
                                        ; implicit-def: $vgpr50_vgpr51
	s_and_saveexec_b32 s4, s1
	s_cbranch_execz .LBB0_17
; %bb.16:
	ds_read_b128 v[24:27], v254
	ds_read_b128 v[36:39], v254 offset:2464
	ds_read_b128 v[44:47], v254 offset:4928
	;; [unrolled: 1-line block ×12, first 2 shown]
.LBB0_17:
	s_or_b32 exec_lo, exec_lo, s4
	v_and_b32_e32 v57, 1, v56
	s_mov_b32 s14, 0x42a4c3d2
	s_mov_b32 s15, 0xbfea55e2
	;; [unrolled: 1-line block ×4, first 2 shown]
	v_mul_u32_u24_e32 v52, 12, v57
	s_mov_b32 s36, 0x4267c47c
	s_mov_b32 s37, 0xbfddbe06
	;; [unrolled: 1-line block ×4, first 2 shown]
	v_lshlrev_b32_e32 v58, 4, v52
	s_mov_b32 s12, 0x66966769
	s_mov_b32 s13, 0xbfefc445
	;; [unrolled: 1-line block ×4, first 2 shown]
	s_clause 0x5
	global_load_dwordx4 v[52:55], v58, s[8:9]
	global_load_dwordx4 v[66:69], v58, s[8:9] offset:16
	global_load_dwordx4 v[70:73], v58, s[8:9] offset:32
	;; [unrolled: 1-line block ×5, first 2 shown]
	s_mov_b32 s18, 0x2ef20147
	s_mov_b32 s19, 0xbfedeba7
	;; [unrolled: 1-line block ×24, first 2 shown]
	s_waitcnt vmcnt(5) lgkmcnt(11)
	v_mul_f64 v[78:79], v[38:39], v[54:55]
	v_mul_f64 v[54:55], v[36:37], v[54:55]
	v_fma_f64 v[90:91], v[36:37], v[52:53], v[78:79]
	v_fma_f64 v[92:93], v[38:39], v[52:53], -v[54:55]
	s_waitcnt vmcnt(4) lgkmcnt(10)
	v_mul_f64 v[36:37], v[46:47], v[68:69]
	v_mul_f64 v[38:39], v[44:45], v[68:69]
	s_clause 0x1
	global_load_dwordx4 v[52:55], v58, s[8:9] offset:64
	global_load_dwordx4 v[78:81], v58, s[8:9] offset:112
	v_fma_f64 v[36:37], v[44:45], v[66:67], v[36:37]
	v_fma_f64 v[38:39], v[46:47], v[66:67], -v[38:39]
	global_load_dwordx4 v[66:69], v58, s[8:9] offset:80
	s_waitcnt vmcnt(6) lgkmcnt(9)
	v_mul_f64 v[44:45], v[18:19], v[72:73]
	v_mul_f64 v[46:47], v[16:17], v[72:73]
	s_waitcnt vmcnt(5) lgkmcnt(8)
	v_mul_f64 v[72:73], v[40:41], v[76:77]
	v_fma_f64 v[44:45], v[16:17], v[70:71], v[44:45]
	v_fma_f64 v[46:47], v[18:19], v[70:71], -v[46:47]
	global_load_dwordx4 v[16:19], v58, s[8:9] offset:96
	v_mul_f64 v[70:71], v[42:43], v[76:77]
	v_fma_f64 v[42:43], v[42:43], v[74:75], -v[72:73]
	v_fma_f64 v[40:41], v[40:41], v[74:75], v[70:71]
	s_waitcnt vmcnt(3) lgkmcnt(7)
	v_mul_f64 v[70:71], v[30:31], v[54:55]
	v_mul_f64 v[54:55], v[28:29], v[54:55]
	v_fma_f64 v[28:29], v[28:29], v[52:53], v[70:71]
	v_fma_f64 v[30:31], v[30:31], v[52:53], -v[54:55]
	s_waitcnt vmcnt(1) lgkmcnt(6)
	v_mul_f64 v[52:53], v[34:35], v[68:69]
	v_mul_f64 v[54:55], v[32:33], v[68:69]
	v_fma_f64 v[52:53], v[32:33], v[66:67], v[52:53]
	s_waitcnt vmcnt(0) lgkmcnt(5)
	v_mul_f64 v[32:33], v[6:7], v[18:19]
	v_mul_f64 v[18:19], v[4:5], v[18:19]
	v_fma_f64 v[54:55], v[34:35], v[66:67], -v[54:55]
	v_fma_f64 v[74:75], v[4:5], v[16:17], v[32:33]
	v_fma_f64 v[76:77], v[6:7], v[16:17], -v[18:19]
	global_load_dwordx4 v[4:7], v58, s[8:9] offset:160
	s_waitcnt lgkmcnt(4)
	v_mul_f64 v[16:17], v[22:23], v[80:81]
	v_mul_f64 v[18:19], v[20:21], v[80:81]
	v_add_f64 v[106:107], v[52:53], v[74:75]
	v_add_f64 v[104:105], v[54:55], -v[76:77]
	v_add_f64 v[108:109], v[52:53], -v[74:75]
	v_fma_f64 v[70:71], v[20:21], v[78:79], v[16:17]
	v_fma_f64 v[72:73], v[22:23], v[78:79], -v[18:19]
	global_load_dwordx4 v[16:19], v58, s[8:9] offset:144
	s_waitcnt lgkmcnt(3)
	v_mul_f64 v[20:21], v[14:15], v[84:85]
	v_mul_f64 v[22:23], v[12:13], v[84:85]
	;; [unrolled: 1-line block ×4, first 2 shown]
	v_add_f64 v[98:99], v[28:29], v[70:71]
	v_add_f64 v[58:59], v[30:31], -v[72:73]
	v_add_f64 v[100:101], v[30:31], v[72:73]
	v_fma_f64 v[66:67], v[12:13], v[82:83], v[20:21]
	v_fma_f64 v[68:69], v[14:15], v[82:83], -v[22:23]
	s_waitcnt lgkmcnt(0)
	v_mul_f64 v[14:15], v[50:51], v[88:89]
	v_mul_f64 v[12:13], v[48:49], v[88:89]
	v_add_f64 v[102:103], v[28:29], -v[70:71]
	v_mul_f64 v[144:145], v[104:105], s[24:25]
	v_mul_f64 v[122:123], v[104:105], s[38:39]
	;; [unrolled: 1-line block ×4, first 2 shown]
	v_add_f64 v[94:95], v[40:41], v[66:67]
	v_add_f64 v[234:235], v[42:43], -v[68:69]
	v_fma_f64 v[34:35], v[48:49], v[86:87], v[14:15]
	v_fma_f64 v[32:33], v[50:51], v[86:87], -v[12:13]
	v_add_f64 v[240:241], v[42:43], v[68:69]
	v_add_f64 v[96:97], v[40:41], -v[66:67]
	v_mul_f64 v[164:165], v[58:59], s[34:35]
	v_mul_f64 v[176:177], v[100:101], s[10:11]
	;; [unrolled: 1-line block ×9, first 2 shown]
	v_add_f64 v[118:119], v[90:91], v[34:35]
	v_add_f64 v[222:223], v[92:93], v[32:33]
	v_add_f64 v[210:211], v[90:91], -v[34:35]
	v_mul_f64 v[116:117], v[240:241], s[16:17]
	v_mul_f64 v[156:157], v[234:235], s[28:29]
	;; [unrolled: 1-line block ×15, first 2 shown]
	s_waitcnt vmcnt(1)
	v_mul_f64 v[20:21], v[8:9], v[6:7]
	v_mul_f64 v[6:7], v[10:11], v[6:7]
	v_fma_f64 v[48:49], v[10:11], v[4:5], -v[20:21]
	v_fma_f64 v[50:51], v[8:9], v[4:5], v[6:7]
	v_add_f64 v[10:11], v[92:93], -v[32:33]
	s_waitcnt vmcnt(0)
	v_mul_f64 v[14:15], v[0:1], v[18:19]
	v_mul_f64 v[12:13], v[2:3], v[18:19]
	v_add_f64 v[8:9], v[38:39], -v[48:49]
	v_add_f64 v[224:225], v[38:39], v[48:49]
	v_add_f64 v[82:83], v[36:37], v[50:51]
	v_fma_f64 v[80:81], v[2:3], v[16:17], -v[14:15]
	v_mul_f64 v[198:199], v[10:11], s[36:37]
	v_fma_f64 v[78:79], v[0:1], v[16:17], v[12:13]
	v_mul_f64 v[214:215], v[10:11], s[14:15]
	v_mul_f64 v[218:219], v[10:11], s[12:13]
	;; [unrolled: 1-line block ×8, first 2 shown]
	v_add_f64 v[226:227], v[46:47], -v[80:81]
	v_fma_f64 v[0:1], v[118:119], s[6:7], -v[198:199]
	v_add_f64 v[86:87], v[44:45], v[78:79]
	v_add_f64 v[228:229], v[46:47], v[80:81]
	v_add_f64 v[88:89], v[44:45], -v[78:79]
	v_mul_f64 v[152:153], v[224:225], s[16:17]
	v_mul_f64 v[168:169], v[8:9], s[30:31]
	;; [unrolled: 1-line block ×5, first 2 shown]
	buffer_store_dword v2, off, s[44:47], 0 offset:16 ; 4-byte Folded Spill
	buffer_store_dword v3, off, s[44:47], 0 offset:20 ; 4-byte Folded Spill
	buffer_store_dword v36, off, s[44:47], 0 offset:8 ; 4-byte Folded Spill
	buffer_store_dword v37, off, s[44:47], 0 offset:12 ; 4-byte Folded Spill
	buffer_store_dword v4, off, s[44:47], 0 offset:24 ; 4-byte Folded Spill
	buffer_store_dword v5, off, s[44:47], 0 offset:28 ; 4-byte Folded Spill
	v_mul_f64 v[110:111], v[226:227], s[12:13]
	v_add_f64 v[0:1], v[24:25], v[0:1]
	v_fma_f64 v[6:7], v[82:83], s[16:17], -v[146:147]
	v_mul_f64 v[112:113], v[228:229], s[10:11]
	v_mul_f64 v[150:151], v[226:227], s[30:31]
	;; [unrolled: 1-line block ×3, first 2 shown]
	v_fma_f64 v[14:15], v[82:83], s[22:23], -v[168:169]
	v_mul_f64 v[182:183], v[226:227], s[42:43]
	v_mul_f64 v[190:191], v[228:229], s[16:17]
	v_fma_f64 v[18:19], v[82:83], s[20:21], -v[136:137]
	v_mul_f64 v[138:139], v[226:227], s[26:27]
	v_mul_f64 v[140:141], v[228:229], s[6:7]
	;; [unrolled: 1-line block ×13, first 2 shown]
	s_waitcnt_vscnt null, 0x0
	s_barrier
	buffer_gl0_inv
	v_fma_f64 v[22:23], v[82:83], s[10:11], -v[202:203]
	v_fma_f64 v[58:59], v[98:99], s[16:17], -v[224:225]
	;; [unrolled: 1-line block ×3, first 2 shown]
	v_add_f64 v[84:85], v[36:37], -v[50:51]
	v_add_f64 v[36:37], v[54:55], v[76:77]
	v_add_f64 v[0:1], v[2:3], v[0:1]
	v_fma_f64 v[2:3], v[210:211], s[36:37], v[208:209]
	v_fma_f64 v[4:5], v[84:85], s[14:15], v[4:5]
	v_mul_f64 v[162:163], v[36:37], s[22:23]
	v_fma_f64 v[12:13], v[84:85], s[18:19], v[152:153]
	v_mul_f64 v[180:181], v[36:37], s[6:7]
	;; [unrolled: 2-line block ×4, first 2 shown]
	v_fma_f64 v[158:159], v[84:85], s[34:35], v[204:205]
	v_fma_f64 v[222:223], v[84:85], s[26:27], v[238:239]
	v_mul_f64 v[240:241], v[36:37], s[10:11]
	v_add_f64 v[2:3], v[26:27], v[2:3]
	v_add_f64 v[2:3], v[4:5], v[2:3]
	v_fma_f64 v[4:5], v[86:87], s[10:11], -v[110:111]
	v_add_f64 v[0:1], v[4:5], v[0:1]
	v_fma_f64 v[4:5], v[88:89], s[12:13], v[112:113]
	v_add_f64 v[2:3], v[4:5], v[2:3]
	v_fma_f64 v[4:5], v[94:95], s[16:17], -v[114:115]
	v_add_f64 v[0:1], v[4:5], v[0:1]
	v_fma_f64 v[4:5], v[96:97], s[18:19], v[116:117]
	v_add_f64 v[2:3], v[4:5], v[2:3]
	v_fma_f64 v[4:5], v[98:99], s[20:21], -v[120:121]
	v_add_f64 v[0:1], v[4:5], v[0:1]
	v_fma_f64 v[4:5], v[102:103], s[24:25], v[124:125]
	v_add_f64 v[2:3], v[4:5], v[2:3]
	v_fma_f64 v[4:5], v[106:107], s[22:23], -v[148:149]
	v_add_f64 v[0:1], v[4:5], v[0:1]
	v_fma_f64 v[4:5], v[108:109], s[30:31], v[162:163]
	v_add_f64 v[2:3], v[4:5], v[2:3]
	v_fma_f64 v[4:5], v[118:119], s[4:5], -v[214:215]
	v_add_f64 v[4:5], v[24:25], v[4:5]
	v_add_f64 v[4:5], v[6:7], v[4:5]
	v_fma_f64 v[6:7], v[210:211], s[14:15], v[216:217]
	v_add_f64 v[6:7], v[26:27], v[6:7]
	v_add_f64 v[6:7], v[12:13], v[6:7]
	v_fma_f64 v[12:13], v[86:87], s[22:23], -v[150:151]
	v_add_f64 v[4:5], v[12:13], v[4:5]
	v_fma_f64 v[12:13], v[88:89], s[30:31], v[160:161]
	v_add_f64 v[6:7], v[12:13], v[6:7]
	v_fma_f64 v[12:13], v[94:95], s[20:21], -v[156:157]
	v_add_f64 v[4:5], v[12:13], v[4:5]
	v_fma_f64 v[12:13], v[96:97], s[28:29], v[170:171]
	v_add_f64 v[6:7], v[12:13], v[6:7]
	v_fma_f64 v[12:13], v[98:99], s[10:11], -v[164:165]
	v_add_f64 v[4:5], v[12:13], v[4:5]
	v_fma_f64 v[12:13], v[102:103], s[34:35], v[176:177]
	v_add_f64 v[6:7], v[12:13], v[6:7]
	v_fma_f64 v[12:13], v[106:107], s[6:7], -v[166:167]
	v_add_f64 v[4:5], v[12:13], v[4:5]
	v_fma_f64 v[12:13], v[108:109], s[26:27], v[180:181]
	v_add_f64 v[6:7], v[12:13], v[6:7]
	v_fma_f64 v[12:13], v[118:119], s[10:11], -v[218:219]
	v_add_f64 v[12:13], v[24:25], v[12:13]
	v_add_f64 v[12:13], v[14:15], v[12:13]
	v_fma_f64 v[14:15], v[210:211], s[12:13], v[220:221]
	;; [unrolled: 22-line block ×4, first 2 shown]
	v_add_f64 v[22:23], v[26:27], v[22:23]
	v_add_f64 v[22:23], v[158:159], v[22:23]
	v_fma_f64 v[158:159], v[86:87], s[4:5], -v[206:207]
	v_add_f64 v[20:21], v[158:159], v[20:21]
	v_fma_f64 v[158:159], v[88:89], s[14:15], v[212:213]
	v_add_f64 v[22:23], v[158:159], v[22:23]
	v_fma_f64 v[158:159], v[94:95], s[22:23], -v[192:193]
	v_add_f64 v[20:21], v[158:159], v[20:21]
	v_fma_f64 v[158:159], v[96:97], s[40:41], v[200:201]
	;; [unrolled: 4-line block ×3, first 2 shown]
	v_add_f64 v[22:23], v[158:159], v[22:23]
	v_mul_f64 v[158:159], v[104:105], s[18:19]
	v_fma_f64 v[172:173], v[106:107], s[16:17], -v[158:159]
	v_add_f64 v[20:21], v[172:173], v[20:21]
	v_mul_f64 v[172:173], v[36:37], s[16:17]
	v_fma_f64 v[230:231], v[108:109], s[18:19], v[172:173]
	v_add_f64 v[22:23], v[230:231], v[22:23]
	v_mul_f64 v[230:231], v[8:9], s[26:27]
	v_fma_f64 v[8:9], v[118:119], s[22:23], -v[250:251]
	v_fma_f64 v[10:11], v[82:83], s[6:7], -v[230:231]
	v_add_f64 v[8:9], v[24:25], v[8:9]
	v_add_f64 v[8:9], v[10:11], v[8:9]
	v_fma_f64 v[10:11], v[210:211], s[30:31], v[252:253]
	v_add_f64 v[10:11], v[26:27], v[10:11]
	v_add_f64 v[10:11], v[222:223], v[10:11]
	v_fma_f64 v[222:223], v[86:87], s[20:21], -v[232:233]
	v_add_f64 v[8:9], v[222:223], v[8:9]
	v_fma_f64 v[222:223], v[88:89], s[24:25], v[236:237]
	v_add_f64 v[10:11], v[222:223], v[10:11]
	v_fma_f64 v[222:223], v[94:95], s[4:5], -v[226:227]
	v_add_f64 v[8:9], v[222:223], v[8:9]
	v_fma_f64 v[222:223], v[96:97], s[38:39], v[228:229]
	v_add_f64 v[8:9], v[58:59], v[8:9]
	v_add_f64 v[10:11], v[222:223], v[10:11]
	v_mul_f64 v[222:223], v[104:105], s[34:35]
	v_fma_f64 v[58:59], v[102:103], s[18:19], v[234:235]
	v_fma_f64 v[36:37], v[106:107], s[10:11], -v[222:223]
	v_add_f64 v[10:11], v[58:59], v[10:11]
	v_add_f64 v[8:9], v[36:37], v[8:9]
	v_fma_f64 v[36:37], v[108:109], s[34:35], v[240:241]
	v_add_f64 v[10:11], v[36:37], v[10:11]
	s_and_saveexec_b32 s33, s1
	s_cbranch_execz .LBB0_19
; %bb.18:
	v_mul_f64 v[104:105], v[118:119], s[20:21]
	v_mul_f64 v[36:37], v[210:211], s[30:31]
	;; [unrolled: 1-line block ×4, first 2 shown]
	v_add_f64 v[104:105], v[104:105], v[246:247]
	v_mul_f64 v[246:247], v[210:211], s[18:19]
	v_add_f64 v[36:37], v[252:253], -v[36:37]
	v_add_f64 v[100:101], v[248:249], -v[100:101]
	v_add_f64 v[58:59], v[58:59], v[250:251]
	v_add_f64 v[104:105], v[24:25], v[104:105]
	v_add_f64 v[244:245], v[244:245], -v[246:247]
	v_mul_f64 v[246:247], v[118:119], s[16:17]
	v_add_f64 v[36:37], v[26:27], v[36:37]
	v_add_f64 v[100:101], v[26:27], v[100:101]
	;; [unrolled: 1-line block ×5, first 2 shown]
	v_mul_f64 v[246:247], v[210:211], s[12:13]
	v_add_f64 v[242:243], v[24:25], v[242:243]
	v_add_f64 v[220:221], v[220:221], -v[246:247]
	v_mul_f64 v[246:247], v[118:119], s[10:11]
	v_add_f64 v[220:221], v[26:27], v[220:221]
	v_add_f64 v[218:219], v[246:247], v[218:219]
	v_mul_f64 v[246:247], v[210:211], s[14:15]
	v_mul_f64 v[210:211], v[210:211], s[36:37]
	v_add_f64 v[218:219], v[24:25], v[218:219]
	v_add_f64 v[216:217], v[216:217], -v[246:247]
	v_mul_f64 v[246:247], v[118:119], s[4:5]
	v_add_f64 v[208:209], v[208:209], -v[210:211]
	v_mul_f64 v[118:119], v[118:119], s[6:7]
	v_add_f64 v[210:211], v[24:25], v[90:91]
	v_add_f64 v[216:217], v[26:27], v[216:217]
	;; [unrolled: 1-line block ×6, first 2 shown]
	v_mul_f64 v[26:27], v[82:83], s[6:7]
	v_mul_f64 v[208:209], v[88:89], s[24:25]
	v_add_f64 v[214:215], v[24:25], v[214:215]
	v_add_f64 v[92:93], v[24:25], v[118:119]
	v_mul_f64 v[24:25], v[84:85], s[26:27]
	v_add_f64 v[26:27], v[26:27], v[230:231]
	v_mul_f64 v[230:231], v[86:87], s[20:21]
	v_add_f64 v[208:209], v[236:237], -v[208:209]
	v_mul_f64 v[118:119], v[108:109], s[34:35]
	v_add_f64 v[38:39], v[198:199], v[38:39]
	v_add_f64 v[24:25], v[238:239], -v[24:25]
	v_add_f64 v[26:27], v[26:27], v[58:59]
	v_add_f64 v[230:231], v[230:231], v[232:233]
	v_mul_f64 v[232:233], v[102:103], s[18:19]
	v_mul_f64 v[58:59], v[98:99], s[16:17]
	v_add_f64 v[118:119], v[240:241], -v[118:119]
	v_add_f64 v[38:39], v[38:39], v[46:47]
	v_add_f64 v[24:25], v[24:25], v[36:37]
	v_mul_f64 v[36:37], v[94:95], s[4:5]
	v_add_f64 v[26:27], v[230:231], v[26:27]
	v_add_f64 v[232:233], v[234:235], -v[232:233]
	v_mul_f64 v[234:235], v[96:97], s[38:39]
	v_add_f64 v[58:59], v[58:59], v[224:225]
	v_add_f64 v[38:39], v[38:39], v[42:43]
	v_mul_f64 v[42:43], v[88:89], s[14:15]
	v_add_f64 v[24:25], v[208:209], v[24:25]
	v_add_f64 v[36:37], v[36:37], v[226:227]
	v_add_f64 v[228:229], v[228:229], -v[234:235]
	v_add_f64 v[30:31], v[38:39], v[30:31]
	v_mul_f64 v[38:39], v[84:85], s[34:35]
	v_add_f64 v[42:43], v[212:213], -v[42:43]
	v_add_f64 v[26:27], v[36:37], v[26:27]
	v_mul_f64 v[36:37], v[106:107], s[10:11]
	v_add_f64 v[24:25], v[228:229], v[24:25]
	v_add_f64 v[30:31], v[30:31], v[54:55]
	v_add_f64 v[38:39], v[204:205], -v[38:39]
	v_mul_f64 v[54:55], v[88:89], s[26:27]
	v_add_f64 v[58:59], v[58:59], v[26:27]
	v_add_f64 v[36:37], v[36:37], v[222:223]
	;; [unrolled: 1-line block ×5, first 2 shown]
	v_add_f64 v[54:55], v[140:141], -v[54:55]
	v_mul_f64 v[76:77], v[86:87], s[6:7]
	v_add_f64 v[26:27], v[118:119], v[24:25]
	v_add_f64 v[24:25], v[36:37], v[58:59]
	s_clause 0x3
	buffer_load_dword v58, off, s[44:47], 0 offset:24
	buffer_load_dword v59, off, s[44:47], 0 offset:28
	;; [unrolled: 1-line block ×4, first 2 shown]
	v_mul_f64 v[36:37], v[84:85], s[14:15]
	v_add_f64 v[38:39], v[42:43], v[38:39]
	v_add_f64 v[30:31], v[30:31], v[72:73]
	v_mul_f64 v[72:73], v[96:97], s[12:13]
	v_add_f64 v[76:77], v[76:77], v[138:139]
	v_mul_f64 v[42:43], v[94:95], s[22:23]
	v_add_f64 v[30:31], v[30:31], v[68:69]
	v_add_f64 v[72:73], v[134:135], -v[72:73]
	v_mul_f64 v[68:69], v[102:103], s[40:41]
	v_add_f64 v[42:43], v[42:43], v[192:193]
	v_add_f64 v[30:31], v[30:31], v[80:81]
	v_add_f64 v[68:69], v[132:133], -v[68:69]
	v_add_f64 v[48:49], v[30:31], v[48:49]
	s_waitcnt vmcnt(2)
	v_add_f64 v[36:37], v[58:59], -v[36:37]
	v_mul_f64 v[58:59], v[82:83], s[4:5]
	v_add_f64 v[36:37], v[36:37], v[90:91]
	s_waitcnt vmcnt(0)
	v_add_f64 v[58:59], v[58:59], v[118:119]
	v_mul_f64 v[118:119], v[88:89], s[12:13]
	v_mul_f64 v[90:91], v[98:99], s[20:21]
	v_add_f64 v[58:59], v[58:59], v[92:93]
	v_add_f64 v[112:113], v[112:113], -v[118:119]
	v_mul_f64 v[118:119], v[86:87], s[10:11]
	v_add_f64 v[90:91], v[90:91], v[120:121]
	v_mul_f64 v[92:93], v[108:109], s[30:31]
	v_mul_f64 v[120:121], v[98:99], s[10:11]
	v_add_f64 v[36:37], v[112:113], v[36:37]
	v_add_f64 v[110:111], v[118:119], v[110:111]
	v_mul_f64 v[118:119], v[96:97], s[18:19]
	v_mul_f64 v[112:113], v[86:87], s[22:23]
	v_add_f64 v[92:93], v[162:163], -v[92:93]
	v_mul_f64 v[162:163], v[94:95], s[6:7]
	v_add_f64 v[120:121], v[120:121], v[164:165]
	v_mul_f64 v[164:165], v[102:103], s[14:15]
	v_add_f64 v[58:59], v[110:111], v[58:59]
	v_add_f64 v[116:117], v[116:117], -v[118:119]
	v_mul_f64 v[118:119], v[94:95], s[16:17]
	v_mul_f64 v[110:111], v[106:107], s[22:23]
	v_add_f64 v[112:113], v[112:113], v[150:151]
	v_mul_f64 v[150:151], v[82:83], s[22:23]
	v_add_f64 v[162:163], v[162:163], v[186:187]
	v_add_f64 v[164:165], v[196:197], -v[164:165]
	v_add_f64 v[36:37], v[116:117], v[36:37]
	v_add_f64 v[114:115], v[118:119], v[114:115]
	;; [unrolled: 1-line block ×3, first 2 shown]
	v_mul_f64 v[118:119], v[102:103], s[24:25]
	v_mul_f64 v[148:149], v[84:85], s[30:31]
	v_mul_f64 v[116:117], v[94:95], s[20:21]
	v_add_f64 v[150:151], v[150:151], v[168:169]
	v_add_f64 v[58:59], v[114:115], v[58:59]
	v_mul_f64 v[114:115], v[96:97], s[28:29]
	v_add_f64 v[118:119], v[124:125], -v[118:119]
	v_add_f64 v[148:149], v[184:185], -v[148:149]
	v_add_f64 v[116:117], v[116:117], v[156:157]
	v_mul_f64 v[156:157], v[86:87], s[16:17]
	v_add_f64 v[150:151], v[150:151], v[218:219]
	v_mul_f64 v[124:125], v[108:109], s[26:27]
	v_add_f64 v[58:59], v[90:91], v[58:59]
	v_add_f64 v[114:115], v[170:171], -v[114:115]
	v_add_f64 v[36:37], v[118:119], v[36:37]
	v_add_f64 v[148:149], v[148:149], v[220:221]
	v_mul_f64 v[118:119], v[102:103], s[34:35]
	v_add_f64 v[156:157], v[156:157], v[182:183]
	v_add_f64 v[124:125], v[180:181], -v[124:125]
	v_add_f64 v[90:91], v[110:111], v[58:59]
	v_mul_f64 v[58:59], v[82:83], s[16:17]
	v_add_f64 v[92:93], v[92:93], v[36:37]
	v_mul_f64 v[36:37], v[84:85], s[18:19]
	v_mul_f64 v[84:85], v[84:85], s[28:29]
	;; [unrolled: 1-line block ×3, first 2 shown]
	v_add_f64 v[150:151], v[156:157], v[150:151]
	v_add_f64 v[118:119], v[176:177], -v[118:119]
	v_add_f64 v[58:59], v[58:59], v[146:147]
	v_mul_f64 v[146:147], v[106:107], s[6:7]
	v_add_f64 v[36:37], v[152:153], -v[36:37]
	v_add_f64 v[84:85], v[142:143], -v[84:85]
	v_mul_f64 v[152:153], v[88:89], s[42:43]
	v_add_f64 v[110:111], v[160:161], -v[110:111]
	v_mul_f64 v[160:161], v[96:97], s[26:27]
	v_add_f64 v[58:59], v[58:59], v[214:215]
	v_add_f64 v[146:147], v[146:147], v[166:167]
	;; [unrolled: 1-line block ×3, first 2 shown]
	v_add_f64 v[152:153], v[190:191], -v[152:153]
	v_add_f64 v[160:161], v[194:195], -v[160:161]
	v_add_f64 v[58:59], v[112:113], v[58:59]
	s_clause 0x1
	buffer_load_dword v112, off, s[44:47], 0 offset:8
	buffer_load_dword v113, off, s[44:47], 0 offset:12
	v_add_f64 v[36:37], v[110:111], v[36:37]
	v_mul_f64 v[110:111], v[98:99], s[4:5]
	v_add_f64 v[148:149], v[152:153], v[148:149]
	v_add_f64 v[58:59], v[116:117], v[58:59]
	v_mul_f64 v[116:117], v[106:107], s[20:21]
	v_add_f64 v[36:37], v[114:115], v[36:37]
	v_add_f64 v[110:111], v[110:111], v[178:179]
	v_mul_f64 v[114:115], v[108:109], s[24:25]
	v_add_f64 v[46:47], v[160:161], v[148:149]
	v_add_f64 v[58:59], v[120:121], v[58:59]
	v_add_f64 v[116:117], v[116:117], v[144:145]
	;; [unrolled: 1-line block ×3, first 2 shown]
	v_add_f64 v[114:115], v[154:155], -v[114:115]
	v_add_f64 v[46:47], v[164:165], v[46:47]
	v_add_f64 v[30:31], v[124:125], v[36:37]
	s_waitcnt vmcnt(0)
	v_add_f64 v[112:113], v[210:211], v[112:113]
	v_add_f64 v[44:45], v[112:113], v[44:45]
	;; [unrolled: 1-line block ×4, first 2 shown]
	v_mul_f64 v[44:45], v[82:83], s[10:11]
	v_add_f64 v[110:111], v[110:111], v[112:113]
	v_add_f64 v[28:29], v[40:41], v[28:29]
	v_mul_f64 v[40:41], v[86:87], s[4:5]
	v_add_f64 v[44:45], v[44:45], v[202:203]
	v_add_f64 v[36:37], v[116:117], v[110:111]
	v_add_f64 v[28:29], v[28:29], v[52:53]
	v_add_f64 v[40:41], v[40:41], v[206:207]
	v_add_f64 v[44:45], v[44:45], v[104:105]
	v_mul_f64 v[52:53], v[82:83], s[20:21]
	v_add_f64 v[28:29], v[28:29], v[74:75]
	v_add_f64 v[74:75], v[84:85], v[244:245]
	;; [unrolled: 1-line block ×3, first 2 shown]
	v_mul_f64 v[44:45], v[102:103], s[26:27]
	v_add_f64 v[52:53], v[52:53], v[136:137]
	v_add_f64 v[28:29], v[28:29], v[70:71]
	v_mul_f64 v[70:71], v[96:97], s[40:41]
	v_add_f64 v[54:55], v[54:55], v[74:75]
	v_add_f64 v[44:45], v[188:189], -v[44:45]
	v_add_f64 v[52:53], v[52:53], v[242:243]
	v_mul_f64 v[74:75], v[94:95], s[10:11]
	v_add_f64 v[40:41], v[42:43], v[40:41]
	v_mul_f64 v[42:43], v[108:109], s[18:19]
	v_add_f64 v[28:29], v[28:29], v[66:67]
	v_add_f64 v[70:71], v[200:201], -v[70:71]
	v_add_f64 v[54:55], v[72:73], v[54:55]
	v_mul_f64 v[66:67], v[98:99], s[6:7]
	v_add_f64 v[52:53], v[76:77], v[52:53]
	v_add_f64 v[74:75], v[74:75], v[130:131]
	v_add_f64 v[42:43], v[172:173], -v[42:43]
	v_add_f64 v[28:29], v[28:29], v[78:79]
	v_add_f64 v[38:39], v[70:71], v[38:39]
	v_mul_f64 v[70:71], v[98:99], s[22:23]
	v_add_f64 v[66:67], v[66:67], v[174:175]
	v_add_f64 v[54:55], v[68:69], v[54:55]
	;; [unrolled: 1-line block ×4, first 2 shown]
	v_mul_f64 v[38:39], v[106:107], s[16:17]
	v_add_f64 v[70:71], v[70:71], v[126:127]
	v_add_f64 v[40:41], v[66:67], v[40:41]
	;; [unrolled: 1-line block ×3, first 2 shown]
	v_lshrrev_b32_e32 v28, 1, v56
	v_add_f64 v[50:51], v[48:49], v[32:33]
	v_add_f64 v[42:43], v[42:43], v[44:45]
	;; [unrolled: 1-line block ×3, first 2 shown]
	v_mul_f64 v[38:39], v[108:109], s[38:39]
	v_add_f64 v[52:53], v[70:71], v[52:53]
	v_mul_u32_u24_e32 v70, 26, v28
	v_add_f64 v[28:29], v[146:147], v[58:59]
	v_add_f64 v[48:49], v[66:67], v[34:35]
	v_or_b32_e32 v32, v70, v57
	v_lshl_add_u32 v32, v32, 4, 0
	v_add_f64 v[40:41], v[72:73], v[40:41]
	v_add_f64 v[74:75], v[128:129], -v[38:39]
	v_mul_f64 v[38:39], v[106:107], s[4:5]
	v_add_f64 v[68:69], v[38:39], v[122:123]
	v_add_f64 v[38:39], v[114:115], v[46:47]
	;; [unrolled: 1-line block ×4, first 2 shown]
	ds_write_b128 v32, v[8:11] offset:224
	ds_write_b128 v32, v[20:23] offset:256
	;; [unrolled: 1-line block ×11, first 2 shown]
	ds_write_b128 v32, v[48:51]
	ds_write_b128 v32, v[0:3] offset:384
.LBB0_19:
	s_or_b32 exec_lo, exec_lo, s33
	s_waitcnt lgkmcnt(0)
	s_barrier
	buffer_gl0_inv
	ds_read_b128 v[28:31], v254
	ds_read_b128 v[48:51], v254 offset:4576
	ds_read_b128 v[44:47], v254 offset:9152
	;; [unrolled: 1-line block ×6, first 2 shown]
	v_cmp_gt_u32_e64 s1, 0x68, v56
	v_lshl_add_u32 v67, v61, 4, 0
                                        ; implicit-def: $vgpr26_vgpr27
	s_and_saveexec_b32 s4, s1
	s_cbranch_execz .LBB0_21
; %bb.20:
	ds_read_b128 v[8:11], v67
	ds_read_b128 v[20:23], v254 offset:7488
	ds_read_b128 v[16:19], v254 offset:12064
	;; [unrolled: 1-line block ×6, first 2 shown]
.LBB0_21:
	s_or_b32 exec_lo, exec_lo, s4
	v_and_b32_e32 v57, 0xff, v56
	s_mov_b32 s10, 0x37e14327
	s_mov_b32 s16, 0xe976ee23
	;; [unrolled: 1-line block ×4, first 2 shown]
	v_mul_lo_u16 v57, 0x4f, v57
	s_mov_b32 s6, 0x429ad128
	s_mov_b32 s4, 0x36b3c0b5
	;; [unrolled: 1-line block ×4, first 2 shown]
	v_lshrrev_b16 v66, 11, v57
	v_mov_b32_e32 v57, 6
	s_mov_b32 s12, 0xaaaaaaaa
	s_mov_b32 s22, 0xb247c609
	s_mov_b32 s13, 0xbff2aaaa
	v_mul_lo_u16 v58, v66, 26
	s_mov_b32 s14, 0x5476071b
	s_mov_b32 s23, 0xbfd5d0dc
	;; [unrolled: 1-line block ×4, first 2 shown]
	v_sub_nc_u16 v102, v56, v58
	s_mov_b32 s21, 0x3fd5d0dc
	s_mov_b32 s18, s14
	;; [unrolled: 1-line block ×4, first 2 shown]
	v_mul_u32_u24_sdwa v58, v102, v57 dst_sel:DWORD dst_unused:UNUSED_PAD src0_sel:BYTE_0 src1_sel:DWORD
	s_mov_b32 s25, 0xbfdc38aa
	v_lshlrev_b32_e32 v58, 4, v58
	s_clause 0x5
	global_load_dwordx4 v[68:71], v58, s[8:9] offset:384
	global_load_dwordx4 v[72:75], v58, s[8:9] offset:400
	;; [unrolled: 1-line block ×6, first 2 shown]
	s_waitcnt vmcnt(0) lgkmcnt(0)
	s_barrier
	buffer_gl0_inv
	v_mul_f64 v[58:59], v[50:51], v[70:71]
	v_mul_f64 v[70:71], v[48:49], v[70:71]
	;; [unrolled: 1-line block ×12, first 2 shown]
	v_fma_f64 v[48:49], v[48:49], v[68:69], v[58:59]
	v_fma_f64 v[50:51], v[50:51], v[68:69], -v[70:71]
	v_fma_f64 v[44:45], v[44:45], v[72:73], v[92:93]
	v_fma_f64 v[46:47], v[46:47], v[72:73], -v[74:75]
	;; [unrolled: 2-line block ×6, first 2 shown]
	v_add_f64 v[58:59], v[48:49], v[52:53]
	v_add_f64 v[68:69], v[50:51], v[54:55]
	;; [unrolled: 1-line block ×4, first 2 shown]
	v_add_f64 v[40:41], v[44:45], -v[40:41]
	v_add_f64 v[42:43], v[46:47], -v[42:43]
	v_add_f64 v[44:45], v[36:37], v[32:33]
	v_add_f64 v[46:47], v[38:39], v[34:35]
	v_add_f64 v[32:33], v[32:33], -v[36:37]
	v_add_f64 v[34:35], v[34:35], -v[38:39]
	;; [unrolled: 1-line block ×4, first 2 shown]
	v_add_f64 v[48:49], v[70:71], v[58:59]
	v_add_f64 v[50:51], v[72:73], v[68:69]
	v_add_f64 v[52:53], v[58:59], -v[44:45]
	v_add_f64 v[54:55], v[68:69], -v[46:47]
	;; [unrolled: 1-line block ×6, first 2 shown]
	v_add_f64 v[40:41], v[32:33], v[40:41]
	v_add_f64 v[42:43], v[34:35], v[42:43]
	v_add_f64 v[82:83], v[36:37], -v[32:33]
	v_add_f64 v[84:85], v[38:39], -v[34:35]
	v_add_f64 v[48:49], v[44:45], v[48:49]
	v_add_f64 v[50:51], v[46:47], v[50:51]
	v_add_f64 v[44:45], v[44:45], -v[70:71]
	v_add_f64 v[46:47], v[46:47], -v[72:73]
	v_mul_f64 v[52:53], v[52:53], s[10:11]
	v_mul_f64 v[54:55], v[54:55], s[10:11]
	;; [unrolled: 1-line block ×6, first 2 shown]
	v_add_f64 v[36:37], v[40:41], v[36:37]
	v_add_f64 v[38:39], v[42:43], v[38:39]
	;; [unrolled: 1-line block ×4, first 2 shown]
	v_add_f64 v[28:29], v[70:71], -v[58:59]
	v_add_f64 v[30:31], v[72:73], -v[68:69]
	v_mul_f64 v[58:59], v[44:45], s[4:5]
	v_mul_f64 v[68:69], v[46:47], s[4:5]
	v_fma_f64 v[40:41], v[44:45], s[4:5], v[52:53]
	v_fma_f64 v[42:43], v[46:47], s[4:5], v[54:55]
	;; [unrolled: 1-line block ×4, first 2 shown]
	v_fma_f64 v[70:71], v[78:79], s[6:7], -v[74:75]
	v_fma_f64 v[72:73], v[80:81], s[6:7], -v[76:77]
	;; [unrolled: 1-line block ×4, first 2 shown]
	v_mov_b32_e32 v82, 0xb60
	v_fma_f64 v[48:49], v[48:49], s[12:13], v[32:33]
	v_fma_f64 v[50:51], v[50:51], s[12:13], v[34:35]
	v_fma_f64 v[52:53], v[28:29], s[18:19], -v[52:53]
	v_fma_f64 v[54:55], v[30:31], s[18:19], -v[54:55]
	;; [unrolled: 1-line block ×4, first 2 shown]
	v_fma_f64 v[58:59], v[36:37], s[24:25], v[44:45]
	v_fma_f64 v[68:69], v[38:39], s[24:25], v[46:47]
	;; [unrolled: 1-line block ×6, first 2 shown]
	v_add_f64 v[78:79], v[40:41], v[48:49]
	v_add_f64 v[80:81], v[42:43], v[50:51]
	;; [unrolled: 1-line block ×7, first 2 shown]
	v_add_f64 v[38:39], v[80:81], -v[58:59]
	v_add_f64 v[40:41], v[76:77], v[52:53]
	v_add_f64 v[42:43], v[54:55], -v[74:75]
	v_add_f64 v[44:45], v[28:29], -v[72:73]
	v_add_f64 v[46:47], v[70:71], v[30:31]
	v_add_f64 v[48:49], v[72:73], v[28:29]
	v_add_f64 v[50:51], v[30:31], -v[70:71]
	v_add_f64 v[52:53], v[52:53], -v[76:77]
	v_add_f64 v[54:55], v[74:75], v[54:55]
	v_add_f64 v[68:69], v[78:79], -v[68:69]
	v_add_f64 v[70:71], v[58:59], v[80:81]
	v_mov_b32_e32 v28, 4
	v_mul_u32_u24_sdwa v29, v66, v82 dst_sel:DWORD dst_unused:UNUSED_PAD src0_sel:WORD_0 src1_sel:DWORD
	v_lshlrev_b32_sdwa v30, v28, v102 dst_sel:DWORD dst_unused:UNUSED_PAD src0_sel:DWORD src1_sel:BYTE_0
	v_add3_u32 v29, 0, v29, v30
	ds_write_b128 v29, v[32:35]
	ds_write_b128 v29, v[36:39] offset:416
	ds_write_b128 v29, v[40:43] offset:832
	;; [unrolled: 1-line block ×6, first 2 shown]
	s_and_saveexec_b32 s26, s1
	s_cbranch_execz .LBB0_23
; %bb.22:
	v_mov_b32_e32 v29, 0x4ec5
	v_mul_u32_u24_sdwa v29, v61, v29 dst_sel:DWORD dst_unused:UNUSED_PAD src0_sel:WORD_0 src1_sel:DWORD
	v_lshrrev_b32_e32 v55, 19, v29
	v_mul_lo_u16 v29, v55, 26
	v_sub_nc_u16 v59, v61, v29
	v_mul_u32_u24_sdwa v29, v59, v57 dst_sel:DWORD dst_unused:UNUSED_PAD src0_sel:WORD_0 src1_sel:DWORD
	v_lshlrev_b32_e32 v49, 4, v29
	s_clause 0x5
	global_load_dwordx4 v[29:32], v49, s[8:9] offset:400
	global_load_dwordx4 v[33:36], v49, s[8:9] offset:448
	;; [unrolled: 1-line block ×6, first 2 shown]
	s_waitcnt vmcnt(5)
	v_mul_f64 v[53:54], v[18:19], v[31:32]
	s_waitcnt vmcnt(4)
	v_mul_f64 v[57:58], v[2:3], v[35:36]
	v_mul_f64 v[31:32], v[16:17], v[31:32]
	v_mul_f64 v[35:36], v[0:1], v[35:36]
	s_waitcnt vmcnt(3)
	v_mul_f64 v[68:69], v[20:21], v[39:40]
	s_waitcnt vmcnt(2)
	v_mul_f64 v[70:71], v[24:25], v[43:44]
	v_mul_f64 v[39:40], v[22:23], v[39:40]
	v_mul_f64 v[43:44], v[26:27], v[43:44]
	;; [unrolled: 6-line block ×3, first 2 shown]
	v_fma_f64 v[16:17], v[16:17], v[29:30], v[53:54]
	v_fma_f64 v[0:1], v[0:1], v[33:34], v[57:58]
	v_fma_f64 v[18:19], v[18:19], v[29:30], -v[31:32]
	v_fma_f64 v[2:3], v[2:3], v[33:34], -v[35:36]
	;; [unrolled: 1-line block ×4, first 2 shown]
	v_fma_f64 v[20:21], v[20:21], v[37:38], v[39:40]
	v_fma_f64 v[24:25], v[24:25], v[41:42], v[43:44]
	;; [unrolled: 1-line block ×4, first 2 shown]
	v_fma_f64 v[14:15], v[14:15], v[49:50], -v[51:52]
	v_fma_f64 v[6:7], v[6:7], v[45:46], -v[47:48]
	v_add_f64 v[33:34], v[16:17], v[0:1]
	v_add_f64 v[0:1], v[16:17], -v[0:1]
	v_add_f64 v[29:30], v[18:19], v[2:3]
	v_add_f64 v[2:3], v[18:19], -v[2:3]
	v_add_f64 v[31:32], v[22:23], v[26:27]
	v_add_f64 v[35:36], v[20:21], v[24:25]
	v_add_f64 v[37:38], v[4:5], -v[12:13]
	v_add_f64 v[4:5], v[12:13], v[4:5]
	v_add_f64 v[16:17], v[14:15], v[6:7]
	v_add_f64 v[6:7], v[6:7], -v[14:15]
	v_add_f64 v[12:13], v[20:21], -v[24:25]
	;; [unrolled: 1-line block ×3, first 2 shown]
	v_add_f64 v[14:15], v[29:30], v[31:32]
	v_add_f64 v[18:19], v[33:34], v[35:36]
	v_add_f64 v[22:23], v[37:38], -v[0:1]
	v_add_f64 v[26:27], v[35:36], -v[4:5]
	;; [unrolled: 1-line block ×6, first 2 shown]
	v_add_f64 v[45:46], v[37:38], v[0:1]
	v_add_f64 v[37:38], v[12:13], -v[37:38]
	v_add_f64 v[47:48], v[6:7], v[2:3]
	v_add_f64 v[6:7], v[20:21], -v[6:7]
	;; [unrolled: 2-line block ×4, first 2 shown]
	v_mul_f64 v[22:23], v[22:23], s[16:17]
	v_mul_f64 v[26:27], v[26:27], s[10:11]
	;; [unrolled: 1-line block ×5, first 2 shown]
	v_add_f64 v[12:13], v[45:46], v[12:13]
	v_add_f64 v[20:21], v[47:48], v[20:21]
	;; [unrolled: 1-line block ×3, first 2 shown]
	v_mul_f64 v[10:11], v[16:17], s[4:5]
	v_add_f64 v[0:1], v[8:9], v[18:19]
	v_add_f64 v[8:9], v[29:30], -v[31:32]
	v_mul_f64 v[29:30], v[43:44], s[6:7]
	v_add_f64 v[31:32], v[33:34], -v[35:36]
	v_mul_f64 v[33:34], v[4:5], s[4:5]
	v_fma_f64 v[35:36], v[37:38], s[22:23], v[22:23]
	v_fma_f64 v[16:17], v[16:17], s[4:5], v[24:25]
	;; [unrolled: 1-line block ×4, first 2 shown]
	v_fma_f64 v[37:38], v[37:38], s[20:21], -v[49:50]
	v_fma_f64 v[22:23], v[41:42], s[6:7], -v[22:23]
	v_fma_f64 v[14:15], v[14:15], s[12:13], v[2:3]
	v_fma_f64 v[18:19], v[18:19], s[12:13], v[0:1]
	v_fma_f64 v[24:25], v[8:9], s[18:19], -v[24:25]
	v_fma_f64 v[6:7], v[6:7], s[20:21], -v[29:30]
	;; [unrolled: 1-line block ×6, first 2 shown]
	v_fma_f64 v[31:32], v[12:13], s[24:25], v[35:36]
	v_fma_f64 v[33:34], v[20:21], s[24:25], v[45:46]
	;; [unrolled: 1-line block ×4, first 2 shown]
	v_add_f64 v[16:17], v[16:17], v[14:15]
	v_add_f64 v[37:38], v[4:5], v[18:19]
	;; [unrolled: 1-line block ×3, first 2 shown]
	v_fma_f64 v[39:40], v[20:21], s[24:25], v[6:7]
	v_add_f64 v[43:44], v[26:27], v[18:19]
	v_add_f64 v[8:9], v[8:9], v[14:15]
	v_fma_f64 v[41:42], v[20:21], s[24:25], v[10:11]
	v_add_f64 v[29:30], v[29:30], v[18:19]
	v_add_f64 v[26:27], v[16:17], -v[31:32]
	v_add_f64 v[6:7], v[31:32], v[16:17]
	v_add_f64 v[24:25], v[33:34], v[37:38]
	;; [unrolled: 1-line block ×3, first 2 shown]
	v_add_f64 v[22:23], v[22:23], -v[35:36]
	v_add_f64 v[20:21], v[39:40], v[43:44]
	v_add_f64 v[18:19], v[12:13], v[8:9]
	v_add_f64 v[14:15], v[8:9], -v[12:13]
	v_add_f64 v[16:17], v[29:30], -v[41:42]
	v_add_f64 v[12:13], v[41:42], v[29:30]
	v_add_f64 v[8:9], v[43:44], -v[39:40]
	v_add_f64 v[4:5], v[37:38], -v[33:34]
	v_mul_lo_u16 v29, 0xb6, v55
	v_lshlrev_b32_sdwa v29, v28, v29 dst_sel:DWORD dst_unused:UNUSED_PAD src0_sel:DWORD src1_sel:WORD_0
	v_lshlrev_b32_sdwa v28, v28, v59 dst_sel:DWORD dst_unused:UNUSED_PAD src0_sel:DWORD src1_sel:WORD_0
	v_add3_u32 v28, 0, v28, v29
	ds_write_b128 v28, v[0:3]
	ds_write_b128 v28, v[24:27] offset:416
	ds_write_b128 v28, v[20:23] offset:832
	;; [unrolled: 1-line block ×6, first 2 shown]
.LBB0_23:
	s_or_b32 exec_lo, exec_lo, s26
	v_mul_u32_u24_e32 v0, 10, v56
	s_waitcnt lgkmcnt(0)
	s_barrier
	buffer_gl0_inv
	s_mov_b32 s4, 0xf8bb580b
	v_lshlrev_b32_e32 v0, 4, v0
	s_mov_b32 s6, 0x8764f0ba
	s_mov_b32 s5, 0xbfe14ced
	;; [unrolled: 1-line block ×4, first 2 shown]
	v_add_co_u32 v14, s1, s8, v0
	v_add_co_ci_u32_e64 v15, null, s9, 0, s1
	s_mov_b32 s14, 0xd9c712b6
	v_add_co_u32 v0, s1, 0xb40, v14
	v_add_co_ci_u32_e64 v1, s1, 0, v15, s1
	v_add_co_u32 v2, s1, 0x800, v14
	v_add_co_ci_u32_e64 v3, s1, 0, v15, s1
	;; [unrolled: 2-line block ×3, first 2 shown]
	s_clause 0x2
	global_load_dwordx4 v[4:7], v[2:3], off offset:832
	global_load_dwordx4 v[8:11], v[0:1], off offset:16
	;; [unrolled: 1-line block ×3, first 2 shown]
	v_add_co_u32 v12, s1, 0xb80, v14
	v_add_co_ci_u32_e64 v13, s1, 0, v15, s1
	s_clause 0x6
	global_load_dwordx4 v[20:23], v[2:3], off offset:960
	global_load_dwordx4 v[24:27], v[0:1], off offset:32
	;; [unrolled: 1-line block ×7, first 2 shown]
	ds_read_b128 v[48:51], v67
	v_lshl_add_u32 v15, v65, 4, 0
	v_lshl_add_u32 v14, v64, 4, 0
	;; [unrolled: 1-line block ×4, first 2 shown]
	ds_read_b128 v[0:3], v254
	ds_read_b128 v[52:55], v254 offset:17472
	ds_read_b128 v[68:71], v254 offset:20384
	;; [unrolled: 1-line block ×5, first 2 shown]
	ds_read_b128 v[84:87], v15
	ds_read_b128 v[88:91], v14
	;; [unrolled: 1-line block ×4, first 2 shown]
	s_mov_b32 s13, 0xbfed1bb4
	s_mov_b32 s15, 0x3fda9628
	;; [unrolled: 1-line block ×24, first 2 shown]
	s_waitcnt vmcnt(0) lgkmcnt(0)
	s_barrier
	buffer_gl0_inv
	v_mul_f64 v[57:58], v[50:51], v[6:7]
	v_mul_f64 v[6:7], v[48:49], v[6:7]
	v_mul_f64 v[100:101], v[80:81], v[18:19]
	v_mul_f64 v[102:103], v[86:87], v[10:11]
	v_mul_f64 v[18:19], v[82:83], v[18:19]
	v_mul_f64 v[10:11], v[84:85], v[10:11]
	v_mul_f64 v[104:105], v[78:79], v[22:23]
	v_mul_f64 v[22:23], v[76:77], v[22:23]
	v_mul_f64 v[106:107], v[90:91], v[26:27]
	v_mul_f64 v[26:27], v[88:89], v[26:27]
	v_mul_f64 v[108:109], v[74:75], v[30:31]
	v_mul_f64 v[30:31], v[72:73], v[30:31]
	v_mul_f64 v[110:111], v[94:95], v[34:35]
	v_mul_f64 v[34:35], v[92:93], v[34:35]
	v_mul_f64 v[112:113], v[70:71], v[38:39]
	v_mul_f64 v[38:39], v[68:69], v[38:39]
	v_mul_f64 v[114:115], v[98:99], v[42:43]
	v_mul_f64 v[42:43], v[96:97], v[42:43]
	v_mul_f64 v[116:117], v[54:55], v[46:47]
	v_mul_f64 v[46:47], v[52:53], v[46:47]
	v_fma_f64 v[48:49], v[48:49], v[4:5], v[57:58]
	v_fma_f64 v[50:51], v[50:51], v[4:5], -v[6:7]
	v_fma_f64 v[4:5], v[82:83], v[16:17], -v[100:101]
	v_fma_f64 v[57:58], v[84:85], v[8:9], v[102:103]
	v_fma_f64 v[6:7], v[80:81], v[16:17], v[18:19]
	v_fma_f64 v[16:17], v[86:87], v[8:9], -v[10:11]
	v_fma_f64 v[8:9], v[76:77], v[20:21], v[104:105]
	v_fma_f64 v[10:11], v[78:79], v[20:21], -v[22:23]
	;; [unrolled: 2-line block ×8, first 2 shown]
	v_add_f64 v[42:43], v[0:1], v[48:49]
	v_add_f64 v[44:45], v[2:3], v[50:51]
	v_add_f64 v[46:47], v[50:51], -v[4:5]
	v_add_f64 v[50:51], v[50:51], v[4:5]
	v_add_f64 v[52:53], v[48:49], v[6:7]
	v_add_f64 v[48:49], v[48:49], -v[6:7]
	v_add_f64 v[54:55], v[57:58], v[8:9]
	v_add_f64 v[68:69], v[16:17], v[10:11]
	v_add_f64 v[72:73], v[16:17], -v[10:11]
	v_add_f64 v[70:71], v[57:58], -v[8:9]
	v_add_f64 v[74:75], v[18:19], v[22:23]
	v_add_f64 v[78:79], v[18:19], -v[22:23]
	v_add_f64 v[76:77], v[20:21], v[24:25]
	;; [unrolled: 2-line block ×3, first 2 shown]
	v_add_f64 v[84:85], v[28:29], v[32:33]
	v_add_f64 v[88:89], v[28:29], -v[32:33]
	v_add_f64 v[86:87], v[26:27], -v[30:31]
	v_add_f64 v[90:91], v[34:35], v[38:39]
	v_add_f64 v[92:93], v[36:37], v[40:41]
	v_add_f64 v[96:97], v[36:37], -v[40:41]
	v_add_f64 v[94:95], v[34:35], -v[38:39]
	v_add_f64 v[42:43], v[42:43], v[57:58]
	v_add_f64 v[16:17], v[44:45], v[16:17]
	v_mul_f64 v[44:45], v[46:47], s[4:5]
	v_mul_f64 v[57:58], v[50:51], s[6:7]
	;; [unrolled: 1-line block ×20, first 2 shown]
	v_add_f64 v[18:19], v[42:43], v[18:19]
	v_add_f64 v[16:17], v[16:17], v[20:21]
	v_fma_f64 v[20:21], v[52:53], s[6:7], v[44:45]
	v_fma_f64 v[42:43], v[48:49], s[10:11], v[57:58]
	v_fma_f64 v[44:45], v[52:53], s[6:7], -v[44:45]
	v_fma_f64 v[57:58], v[48:49], s[4:5], v[57:58]
	v_fma_f64 v[174:175], v[52:53], s[14:15], v[98:99]
	;; [unrolled: 1-line block ×3, first 2 shown]
	v_mul_f64 v[126:127], v[80:81], s[16:17]
	v_mul_f64 v[128:129], v[76:77], s[20:21]
	;; [unrolled: 1-line block ×14, first 2 shown]
	v_add_f64 v[18:19], v[18:19], v[26:27]
	v_add_f64 v[16:17], v[16:17], v[28:29]
	v_mul_f64 v[150:151], v[88:89], s[4:5]
	v_mul_f64 v[152:153], v[84:85], s[6:7]
	;; [unrolled: 1-line block ×16, first 2 shown]
	v_fma_f64 v[98:99], v[52:53], s[14:15], -v[98:99]
	v_fma_f64 v[178:179], v[52:53], s[20:21], v[102:103]
	v_fma_f64 v[180:181], v[48:49], s[22:23], v[104:105]
	v_fma_f64 v[102:103], v[52:53], s[20:21], -v[102:103]
	v_fma_f64 v[182:183], v[52:53], s[26:27], v[106:107]
	v_fma_f64 v[184:185], v[48:49], s[28:29], v[108:109]
	;; [unrolled: 3-line block ×3, first 2 shown]
	v_fma_f64 v[100:101], v[48:49], s[12:13], v[100:101]
	v_fma_f64 v[104:105], v[48:49], s[16:17], v[104:105]
	;; [unrolled: 1-line block ×3, first 2 shown]
	v_fma_f64 v[46:47], v[52:53], s[34:35], -v[46:47]
	v_fma_f64 v[48:49], v[48:49], s[30:31], v[50:51]
	v_add_f64 v[18:19], v[18:19], v[34:35]
	v_add_f64 v[16:17], v[16:17], v[36:37]
	v_fma_f64 v[50:51], v[54:55], s[14:15], v[110:111]
	v_fma_f64 v[52:53], v[70:71], s[18:19], v[112:113]
	v_add_f64 v[20:21], v[0:1], v[20:21]
	v_add_f64 v[34:35], v[2:3], v[42:43]
	v_fma_f64 v[110:111], v[54:55], s[14:15], -v[110:111]
	v_fma_f64 v[112:113], v[70:71], s[12:13], v[112:113]
	v_fma_f64 v[190:191], v[54:55], s[26:27], v[114:115]
	;; [unrolled: 1-line block ×3, first 2 shown]
	v_add_f64 v[36:37], v[0:1], v[44:45]
	v_add_f64 v[42:43], v[2:3], v[57:58]
	;; [unrolled: 1-line block ×4, first 2 shown]
	v_fma_f64 v[114:115], v[54:55], s[26:27], -v[114:115]
	v_fma_f64 v[116:117], v[70:71], s[24:25], v[116:117]
	v_fma_f64 v[194:195], v[54:55], s[34:35], v[118:119]
	v_fma_f64 v[196:197], v[70:71], s[30:31], v[120:121]
	v_fma_f64 v[118:119], v[54:55], s[34:35], -v[118:119]
	v_fma_f64 v[120:121], v[70:71], s[36:37], v[120:121]
	v_fma_f64 v[198:199], v[54:55], s[20:21], v[122:123]
	v_fma_f64 v[200:201], v[70:71], s[16:17], v[124:125]
	v_fma_f64 v[122:123], v[54:55], s[20:21], -v[122:123]
	v_fma_f64 v[124:125], v[70:71], s[22:23], v[124:125]
	v_fma_f64 v[202:203], v[54:55], s[6:7], v[72:73]
	v_fma_f64 v[204:205], v[70:71], s[4:5], v[68:69]
	v_fma_f64 v[54:55], v[54:55], s[6:7], -v[72:73]
	v_fma_f64 v[68:69], v[70:71], s[10:11], v[68:69]
	v_fma_f64 v[70:71], v[74:75], s[20:21], v[126:127]
	v_fma_f64 v[72:73], v[78:79], s[22:23], v[128:129]
	v_fma_f64 v[126:127], v[74:75], s[20:21], -v[126:127]
	v_fma_f64 v[128:129], v[78:79], s[16:17], v[128:129]
	v_fma_f64 v[206:207], v[74:75], s[34:35], v[130:131]
	v_fma_f64 v[208:209], v[78:79], s[30:31], v[132:133]
	v_fma_f64 v[130:131], v[74:75], s[34:35], -v[130:131]
	v_fma_f64 v[132:133], v[78:79], s[36:37], v[132:133]
	v_fma_f64 v[210:211], v[74:75], s[14:15], v[134:135]
	v_fma_f64 v[212:213], v[78:79], s[12:13], v[136:137]
	v_fma_f64 v[134:135], v[74:75], s[14:15], -v[134:135]
	v_fma_f64 v[136:137], v[78:79], s[18:19], v[136:137]
	v_fma_f64 v[214:215], v[74:75], s[6:7], v[138:139]
	v_fma_f64 v[216:217], v[78:79], s[10:11], v[140:141]
	v_fma_f64 v[138:139], v[74:75], s[6:7], -v[138:139]
	v_fma_f64 v[140:141], v[78:79], s[4:5], v[140:141]
	v_fma_f64 v[218:219], v[74:75], s[26:27], v[80:81]
	v_fma_f64 v[220:221], v[78:79], s[28:29], v[76:77]
	v_fma_f64 v[74:75], v[74:75], s[26:27], -v[80:81]
	v_fma_f64 v[76:77], v[78:79], s[24:25], v[76:77]
	v_fma_f64 v[78:79], v[82:83], s[26:27], v[142:143]
	v_fma_f64 v[80:81], v[86:87], s[28:29], v[144:145]
	v_fma_f64 v[142:143], v[82:83], s[26:27], -v[142:143]
	v_fma_f64 v[144:145], v[86:87], s[24:25], v[144:145]
	v_fma_f64 v[222:223], v[82:83], s[20:21], v[146:147]
	v_fma_f64 v[224:225], v[86:87], s[16:17], v[148:149]
	v_fma_f64 v[146:147], v[82:83], s[20:21], -v[146:147]
	v_fma_f64 v[148:149], v[86:87], s[22:23], v[148:149]
	v_fma_f64 v[226:227], v[82:83], s[6:7], v[150:151]
	v_fma_f64 v[228:229], v[86:87], s[10:11], v[152:153]
	v_fma_f64 v[150:151], v[82:83], s[6:7], -v[150:151]
	v_fma_f64 v[152:153], v[86:87], s[4:5], v[152:153]
	v_fma_f64 v[230:231], v[82:83], s[34:35], v[154:155]
	v_fma_f64 v[232:233], v[86:87], s[36:37], v[156:157]
	v_fma_f64 v[154:155], v[82:83], s[34:35], -v[154:155]
	v_fma_f64 v[156:157], v[86:87], s[30:31], v[156:157]
	v_fma_f64 v[234:235], v[82:83], s[14:15], v[88:89]
	v_fma_f64 v[236:237], v[86:87], s[12:13], v[84:85]
	v_fma_f64 v[82:83], v[82:83], s[14:15], -v[88:89]
	v_fma_f64 v[84:85], v[86:87], s[18:19], v[84:85]
	v_fma_f64 v[26:27], v[90:91], s[34:35], v[158:159]
	v_fma_f64 v[28:29], v[94:95], s[36:37], v[160:161]
	v_fma_f64 v[86:87], v[90:91], s[34:35], -v[158:159]
	v_fma_f64 v[88:89], v[94:95], s[30:31], v[160:161]
	v_fma_f64 v[158:159], v[90:91], s[6:7], v[162:163]
	v_fma_f64 v[160:161], v[94:95], s[4:5], v[164:165]
	v_fma_f64 v[162:163], v[90:91], s[6:7], -v[162:163]
	v_fma_f64 v[164:165], v[94:95], s[10:11], v[164:165]
	v_fma_f64 v[238:239], v[90:91], s[26:27], v[166:167]
	v_fma_f64 v[240:241], v[94:95], s[28:29], v[168:169]
	v_fma_f64 v[166:167], v[90:91], s[26:27], -v[166:167]
	v_fma_f64 v[168:169], v[94:95], s[24:25], v[168:169]
	v_fma_f64 v[242:243], v[90:91], s[14:15], v[170:171]
	v_fma_f64 v[244:245], v[94:95], s[12:13], v[172:173]
	v_fma_f64 v[170:171], v[90:91], s[14:15], -v[170:171]
	v_fma_f64 v[172:173], v[94:95], s[18:19], v[172:173]
	v_fma_f64 v[246:247], v[90:91], s[20:21], v[96:97]
	v_fma_f64 v[90:91], v[90:91], s[20:21], -v[96:97]
	v_fma_f64 v[96:97], v[94:95], s[22:23], v[92:93]
	v_fma_f64 v[92:93], v[94:95], s[16:17], v[92:93]
	v_add_f64 v[94:95], v[0:1], v[98:99]
	v_add_f64 v[98:99], v[0:1], v[178:179]
	;; [unrolled: 1-line block ×104, first 2 shown]
	ds_write_b128 v254, v[0:3] offset:2912
	ds_write_b128 v254, v[16:19] offset:5824
	;; [unrolled: 1-line block ×10, first 2 shown]
	ds_write_b128 v254, v[48:51]
	s_waitcnt lgkmcnt(0)
	s_barrier
	buffer_gl0_inv
	ds_read_b128 v[4:7], v254
	v_mov_b32_e32 v57, 0
	v_sub_nc_u32_e32 v10, 0, v62
	s_add_u32 s4, s8, 0x7d00
	s_addc_u32 s5, s9, 0
	s_mov_b32 s6, exec_lo
                                        ; implicit-def: $vgpr2_vgpr3
                                        ; implicit-def: $vgpr8_vgpr9
	v_cmpx_ne_u32_e32 0, v56
	s_xor_b32 s6, exec_lo, s6
	s_cbranch_execz .LBB0_25
; %bb.24:
	v_lshlrev_b64 v[0:1], 4, v[56:57]
	v_add_co_u32 v0, s1, s4, v0
	v_add_co_ci_u32_e64 v1, s1, s5, v1, s1
	global_load_dwordx4 v[16:19], v[0:1], off
	ds_read_b128 v[0:3], v10 offset:32032
	s_waitcnt lgkmcnt(0)
	v_add_f64 v[8:9], v[4:5], -v[0:1]
	v_add_f64 v[20:21], v[6:7], v[2:3]
	v_add_f64 v[2:3], v[6:7], -v[2:3]
	v_add_f64 v[0:1], v[4:5], v[0:1]
	v_mul_f64 v[6:7], v[8:9], 0.5
	v_mul_f64 v[4:5], v[20:21], 0.5
	;; [unrolled: 1-line block ×3, first 2 shown]
	s_waitcnt vmcnt(0)
	v_mul_f64 v[8:9], v[6:7], v[18:19]
	v_fma_f64 v[20:21], v[4:5], v[18:19], v[2:3]
	v_fma_f64 v[2:3], v[4:5], v[18:19], -v[2:3]
	v_fma_f64 v[22:23], v[0:1], 0.5, v[8:9]
	v_fma_f64 v[0:1], v[0:1], 0.5, -v[8:9]
	v_fma_f64 v[8:9], -v[16:17], v[6:7], v[20:21]
	v_fma_f64 v[2:3], -v[16:17], v[6:7], v[2:3]
	v_fma_f64 v[18:19], v[4:5], v[16:17], v[22:23]
	v_fma_f64 v[0:1], -v[4:5], v[16:17], v[0:1]
                                        ; implicit-def: $vgpr4_vgpr5
	ds_write_b64 v254, v[18:19]
.LBB0_25:
	s_andn2_saveexec_b32 s1, s6
	s_cbranch_execz .LBB0_27
; %bb.26:
	v_mov_b32_e32 v11, 0
	s_waitcnt lgkmcnt(0)
	v_add_f64 v[18:19], v[4:5], v[6:7]
	v_add_f64 v[0:1], v[4:5], -v[6:7]
	v_mov_b32_e32 v8, 0
	v_mov_b32_e32 v9, 0
	ds_read_b64 v[16:17], v11 offset:16024
	v_mov_b32_e32 v2, v8
	v_mov_b32_e32 v3, v9
	s_waitcnt lgkmcnt(0)
	v_xor_b32_e32 v17, 0x80000000, v17
	ds_write_b64 v254, v[18:19]
	ds_write_b64 v11, v[16:17] offset:16024
.LBB0_27:
	s_or_b32 exec_lo, exec_lo, s1
	v_mov_b32_e32 v62, 0
	ds_write_b64 v254, v[8:9] offset:8
	ds_write_b128 v10, v[0:3] offset:32032
	s_waitcnt lgkmcnt(2)
	v_lshlrev_b64 v[4:5], 4, v[61:62]
	v_mov_b32_e32 v66, v62
	v_lshlrev_b64 v[16:17], 4, v[65:66]
	v_add_co_u32 v4, s1, s4, v4
	v_add_co_ci_u32_e64 v5, s1, s5, v5, s1
	v_mov_b32_e32 v65, v62
	v_add_co_u32 v16, s1, s4, v16
	global_load_dwordx4 v[4:7], v[4:5], off
	v_add_co_ci_u32_e64 v17, s1, s5, v17, s1
	v_lshlrev_b64 v[8:9], 4, v[64:65]
	v_mov_b32_e32 v64, v62
	global_load_dwordx4 v[16:19], v[16:17], off
	ds_read_b128 v[0:3], v67
	ds_read_b128 v[20:23], v10 offset:29120
	v_add_co_u32 v8, s1, s4, v8
	v_add_co_ci_u32_e64 v9, s1, s5, v9, s1
	global_load_dwordx4 v[24:27], v[8:9], off
	s_waitcnt lgkmcnt(0)
	v_add_f64 v[8:9], v[0:1], -v[20:21]
	v_add_f64 v[28:29], v[2:3], v[22:23]
	v_add_f64 v[2:3], v[2:3], -v[22:23]
	v_add_f64 v[0:1], v[0:1], v[20:21]
	v_mul_f64 v[8:9], v[8:9], 0.5
	v_mul_f64 v[22:23], v[28:29], 0.5
	;; [unrolled: 1-line block ×3, first 2 shown]
	s_waitcnt vmcnt(2)
	v_mul_f64 v[20:21], v[8:9], v[6:7]
	v_fma_f64 v[28:29], v[22:23], v[6:7], v[2:3]
	v_fma_f64 v[6:7], v[22:23], v[6:7], -v[2:3]
	v_fma_f64 v[30:31], v[0:1], 0.5, v[20:21]
	v_fma_f64 v[20:21], v[0:1], 0.5, -v[20:21]
	v_fma_f64 v[2:3], -v[4:5], v[8:9], v[28:29]
	v_fma_f64 v[6:7], -v[4:5], v[8:9], v[6:7]
	v_lshlrev_b64 v[8:9], 4, v[63:64]
	v_add_co_u32 v8, s1, s4, v8
	v_add_co_ci_u32_e64 v9, s1, s5, v9, s1
	v_fma_f64 v[0:1], v[22:23], v[4:5], v[30:31]
	v_fma_f64 v[4:5], -v[22:23], v[4:5], v[20:21]
	ds_write_b128 v67, v[0:3]
	ds_write_b128 v10, v[4:7] offset:29120
	ds_read_b128 v[0:3], v15
	ds_read_b128 v[4:7], v10 offset:26208
	global_load_dwordx4 v[20:23], v[8:9], off
	s_waitcnt lgkmcnt(0)
	v_add_f64 v[8:9], v[0:1], -v[4:5]
	v_add_f64 v[28:29], v[2:3], v[6:7]
	v_add_f64 v[2:3], v[2:3], -v[6:7]
	v_add_f64 v[0:1], v[0:1], v[4:5]
	v_mul_f64 v[6:7], v[8:9], 0.5
	v_mul_f64 v[8:9], v[28:29], 0.5
	;; [unrolled: 1-line block ×3, first 2 shown]
	s_waitcnt vmcnt(2)
	v_mul_f64 v[4:5], v[6:7], v[18:19]
	v_fma_f64 v[28:29], v[8:9], v[18:19], v[2:3]
	v_fma_f64 v[18:19], v[8:9], v[18:19], -v[2:3]
	v_fma_f64 v[30:31], v[0:1], 0.5, v[4:5]
	v_fma_f64 v[4:5], v[0:1], 0.5, -v[4:5]
	v_fma_f64 v[2:3], -v[16:17], v[6:7], v[28:29]
	v_fma_f64 v[6:7], -v[16:17], v[6:7], v[18:19]
	v_fma_f64 v[0:1], v[8:9], v[16:17], v[30:31]
	v_fma_f64 v[4:5], -v[8:9], v[16:17], v[4:5]
	ds_write_b128 v15, v[0:3]
	ds_write_b128 v10, v[4:7] offset:26208
	ds_read_b128 v[0:3], v14
	ds_read_b128 v[4:7], v10 offset:23296
	s_waitcnt lgkmcnt(0)
	v_add_f64 v[8:9], v[0:1], -v[4:5]
	v_add_f64 v[15:16], v[2:3], v[6:7]
	v_add_f64 v[2:3], v[2:3], -v[6:7]
	v_add_f64 v[0:1], v[0:1], v[4:5]
	v_mul_f64 v[6:7], v[8:9], 0.5
	v_mul_f64 v[8:9], v[15:16], 0.5
	v_mul_f64 v[2:3], v[2:3], 0.5
	s_waitcnt vmcnt(1)
	v_mul_f64 v[4:5], v[6:7], v[26:27]
	v_fma_f64 v[15:16], v[8:9], v[26:27], v[2:3]
	v_fma_f64 v[17:18], v[8:9], v[26:27], -v[2:3]
	v_fma_f64 v[26:27], v[0:1], 0.5, v[4:5]
	v_fma_f64 v[4:5], v[0:1], 0.5, -v[4:5]
	v_fma_f64 v[2:3], -v[24:25], v[6:7], v[15:16]
	v_fma_f64 v[6:7], -v[24:25], v[6:7], v[17:18]
	v_fma_f64 v[0:1], v[8:9], v[24:25], v[26:27]
	v_fma_f64 v[4:5], -v[8:9], v[24:25], v[4:5]
	ds_write_b128 v14, v[0:3]
	ds_write_b128 v10, v[4:7] offset:23296
	ds_read_b128 v[0:3], v13
	ds_read_b128 v[4:7], v10 offset:20384
	s_waitcnt lgkmcnt(0)
	v_add_f64 v[8:9], v[0:1], -v[4:5]
	v_add_f64 v[14:15], v[2:3], v[6:7]
	v_add_f64 v[2:3], v[2:3], -v[6:7]
	v_add_f64 v[0:1], v[0:1], v[4:5]
	v_mul_f64 v[6:7], v[8:9], 0.5
	v_mul_f64 v[8:9], v[14:15], 0.5
	;; [unrolled: 1-line block ×3, first 2 shown]
	s_waitcnt vmcnt(0)
	v_mul_f64 v[4:5], v[6:7], v[22:23]
	v_fma_f64 v[14:15], v[8:9], v[22:23], v[2:3]
	v_fma_f64 v[16:17], v[8:9], v[22:23], -v[2:3]
	v_fma_f64 v[18:19], v[0:1], 0.5, v[4:5]
	v_fma_f64 v[4:5], v[0:1], 0.5, -v[4:5]
	v_fma_f64 v[2:3], -v[20:21], v[6:7], v[14:15]
	v_fma_f64 v[6:7], -v[20:21], v[6:7], v[16:17]
	v_fma_f64 v[0:1], v[8:9], v[20:21], v[18:19]
	v_fma_f64 v[4:5], -v[8:9], v[20:21], v[4:5]
	ds_write_b128 v13, v[0:3]
	ds_write_b128 v10, v[4:7] offset:20384
	s_and_saveexec_b32 s1, s0
	s_cbranch_execz .LBB0_29
; %bb.28:
	v_mov_b32_e32 v61, v62
	v_lshlrev_b64 v[0:1], 4, v[60:61]
	v_add_co_u32 v0, s0, s4, v0
	v_add_co_ci_u32_e64 v1, s0, s5, v1, s0
	global_load_dwordx4 v[0:3], v[0:1], off
	ds_read_b128 v[4:7], v12
	ds_read_b128 v[13:16], v10 offset:17472
	s_waitcnt lgkmcnt(0)
	v_add_f64 v[8:9], v[4:5], -v[13:14]
	v_add_f64 v[17:18], v[6:7], v[15:16]
	v_add_f64 v[6:7], v[6:7], -v[15:16]
	v_add_f64 v[4:5], v[4:5], v[13:14]
	v_mul_f64 v[8:9], v[8:9], 0.5
	v_mul_f64 v[15:16], v[17:18], 0.5
	;; [unrolled: 1-line block ×3, first 2 shown]
	s_waitcnt vmcnt(0)
	v_mul_f64 v[13:14], v[8:9], v[2:3]
	v_fma_f64 v[17:18], v[15:16], v[2:3], v[6:7]
	v_fma_f64 v[2:3], v[15:16], v[2:3], -v[6:7]
	v_fma_f64 v[6:7], v[4:5], 0.5, v[13:14]
	v_fma_f64 v[13:14], v[4:5], 0.5, -v[13:14]
	v_fma_f64 v[4:5], -v[0:1], v[8:9], v[17:18]
	v_fma_f64 v[8:9], -v[0:1], v[8:9], v[2:3]
	v_fma_f64 v[2:3], v[15:16], v[0:1], v[6:7]
	v_fma_f64 v[6:7], -v[15:16], v[0:1], v[13:14]
	ds_write_b128 v12, v[2:5]
	ds_write_b128 v10, v[6:9] offset:17472
.LBB0_29:
	s_or_b32 exec_lo, exec_lo, s1
	s_waitcnt lgkmcnt(0)
	s_barrier
	buffer_gl0_inv
	s_and_saveexec_b32 s0, vcc_lo
	s_cbranch_execz .LBB0_32
; %bb.30:
	ds_read_b128 v[2:5], v254
	ds_read_b128 v[6:9], v254 offset:2912
	ds_read_b128 v[10:13], v254 offset:5824
	s_clause 0x1
	buffer_load_dword v0, off, s[44:47], 0
	buffer_load_dword v1, off, s[44:47], 0 offset:4
	v_mov_b32_e32 v57, 0
	v_lshlrev_b64 v[14:15], 4, v[56:57]
	s_waitcnt vmcnt(1)
	v_add_co_u32 v0, vcc_lo, s2, v0
	s_waitcnt vmcnt(0)
	v_add_co_ci_u32_e32 v1, vcc_lo, s3, v1, vcc_lo
	v_add_co_u32 v18, vcc_lo, v0, v14
	v_add_co_ci_u32_e32 v19, vcc_lo, v1, v15, vcc_lo
	v_add_co_u32 v14, vcc_lo, 0x800, v18
	;; [unrolled: 2-line block ×3, first 2 shown]
	v_add_co_ci_u32_e32 v17, vcc_lo, 0, v19, vcc_lo
	s_waitcnt lgkmcnt(2)
	global_store_dwordx4 v[18:19], v[2:5], off
	s_waitcnt lgkmcnt(1)
	global_store_dwordx4 v[14:15], v[6:9], off offset:864
	ds_read_b128 v[2:5], v254 offset:8736
	v_add_co_u32 v20, vcc_lo, 0x2000, v18
	s_waitcnt lgkmcnt(1)
	global_store_dwordx4 v[16:17], v[10:13], off offset:1728
	ds_read_b128 v[6:9], v254 offset:11648
	ds_read_b128 v[10:13], v254 offset:14560
	;; [unrolled: 1-line block ×3, first 2 shown]
	v_add_co_ci_u32_e32 v21, vcc_lo, 0, v19, vcc_lo
	v_add_co_u32 v22, vcc_lo, 0x2800, v18
	v_add_co_ci_u32_e32 v23, vcc_lo, 0, v19, vcc_lo
	v_add_co_u32 v24, vcc_lo, 0x3800, v18
	;; [unrolled: 2-line block ×3, first 2 shown]
	v_add_co_ci_u32_e32 v27, vcc_lo, 0, v19, vcc_lo
	s_waitcnt lgkmcnt(3)
	global_store_dwordx4 v[20:21], v[2:5], off offset:544
	s_waitcnt lgkmcnt(2)
	global_store_dwordx4 v[22:23], v[6:9], off offset:1408
	;; [unrolled: 2-line block ×4, first 2 shown]
	ds_read_b128 v[2:5], v254 offset:20384
	ds_read_b128 v[6:9], v254 offset:23296
	;; [unrolled: 1-line block ×4, first 2 shown]
	v_add_co_u32 v20, vcc_lo, 0x4800, v18
	v_add_co_ci_u32_e32 v21, vcc_lo, 0, v19, vcc_lo
	v_add_co_u32 v22, vcc_lo, 0x5800, v18
	v_add_co_ci_u32_e32 v23, vcc_lo, 0, v19, vcc_lo
	;; [unrolled: 2-line block ×4, first 2 shown]
	v_cmp_eq_u32_e32 vcc_lo, 0xb5, v56
	s_waitcnt lgkmcnt(3)
	global_store_dwordx4 v[20:21], v[2:5], off offset:1952
	s_waitcnt lgkmcnt(2)
	global_store_dwordx4 v[22:23], v[6:9], off offset:768
	;; [unrolled: 2-line block ×4, first 2 shown]
	s_and_b32 exec_lo, exec_lo, vcc_lo
	s_cbranch_execz .LBB0_32
; %bb.31:
	ds_read_b128 v[2:5], v57 offset:32032
	v_add_co_u32 v0, vcc_lo, 0x7800, v0
	v_add_co_ci_u32_e32 v1, vcc_lo, 0, v1, vcc_lo
	s_waitcnt lgkmcnt(0)
	global_store_dwordx4 v[0:1], v[2:5], off offset:1312
.LBB0_32:
	s_endpgm
	.section	.rodata,"a",@progbits
	.p2align	6, 0x0
	.amdhsa_kernel fft_rtc_back_len2002_factors_2_13_7_11_wgs_182_tpt_182_halfLds_dp_ip_CI_unitstride_sbrr_R2C_dirReg
		.amdhsa_group_segment_fixed_size 0
		.amdhsa_private_segment_fixed_size 36
		.amdhsa_kernarg_size 88
		.amdhsa_user_sgpr_count 6
		.amdhsa_user_sgpr_private_segment_buffer 1
		.amdhsa_user_sgpr_dispatch_ptr 0
		.amdhsa_user_sgpr_queue_ptr 0
		.amdhsa_user_sgpr_kernarg_segment_ptr 1
		.amdhsa_user_sgpr_dispatch_id 0
		.amdhsa_user_sgpr_flat_scratch_init 0
		.amdhsa_user_sgpr_private_segment_size 0
		.amdhsa_wavefront_size32 1
		.amdhsa_uses_dynamic_stack 0
		.amdhsa_system_sgpr_private_segment_wavefront_offset 1
		.amdhsa_system_sgpr_workgroup_id_x 1
		.amdhsa_system_sgpr_workgroup_id_y 0
		.amdhsa_system_sgpr_workgroup_id_z 0
		.amdhsa_system_sgpr_workgroup_info 0
		.amdhsa_system_vgpr_workitem_id 0
		.amdhsa_next_free_vgpr 255
		.amdhsa_next_free_sgpr 48
		.amdhsa_reserve_vcc 1
		.amdhsa_reserve_flat_scratch 0
		.amdhsa_float_round_mode_32 0
		.amdhsa_float_round_mode_16_64 0
		.amdhsa_float_denorm_mode_32 3
		.amdhsa_float_denorm_mode_16_64 3
		.amdhsa_dx10_clamp 1
		.amdhsa_ieee_mode 1
		.amdhsa_fp16_overflow 0
		.amdhsa_workgroup_processor_mode 1
		.amdhsa_memory_ordered 1
		.amdhsa_forward_progress 0
		.amdhsa_shared_vgpr_count 0
		.amdhsa_exception_fp_ieee_invalid_op 0
		.amdhsa_exception_fp_denorm_src 0
		.amdhsa_exception_fp_ieee_div_zero 0
		.amdhsa_exception_fp_ieee_overflow 0
		.amdhsa_exception_fp_ieee_underflow 0
		.amdhsa_exception_fp_ieee_inexact 0
		.amdhsa_exception_int_div_zero 0
	.end_amdhsa_kernel
	.text
.Lfunc_end0:
	.size	fft_rtc_back_len2002_factors_2_13_7_11_wgs_182_tpt_182_halfLds_dp_ip_CI_unitstride_sbrr_R2C_dirReg, .Lfunc_end0-fft_rtc_back_len2002_factors_2_13_7_11_wgs_182_tpt_182_halfLds_dp_ip_CI_unitstride_sbrr_R2C_dirReg
                                        ; -- End function
	.section	.AMDGPU.csdata,"",@progbits
; Kernel info:
; codeLenInByte = 14972
; NumSgprs: 50
; NumVgprs: 255
; ScratchSize: 36
; MemoryBound: 0
; FloatMode: 240
; IeeeMode: 1
; LDSByteSize: 0 bytes/workgroup (compile time only)
; SGPRBlocks: 6
; VGPRBlocks: 31
; NumSGPRsForWavesPerEU: 50
; NumVGPRsForWavesPerEU: 255
; Occupancy: 4
; WaveLimiterHint : 1
; COMPUTE_PGM_RSRC2:SCRATCH_EN: 1
; COMPUTE_PGM_RSRC2:USER_SGPR: 6
; COMPUTE_PGM_RSRC2:TRAP_HANDLER: 0
; COMPUTE_PGM_RSRC2:TGID_X_EN: 1
; COMPUTE_PGM_RSRC2:TGID_Y_EN: 0
; COMPUTE_PGM_RSRC2:TGID_Z_EN: 0
; COMPUTE_PGM_RSRC2:TIDIG_COMP_CNT: 0
	.text
	.p2alignl 6, 3214868480
	.fill 48, 4, 3214868480
	.type	__hip_cuid_f26eaaccbda3b766,@object ; @__hip_cuid_f26eaaccbda3b766
	.section	.bss,"aw",@nobits
	.globl	__hip_cuid_f26eaaccbda3b766
__hip_cuid_f26eaaccbda3b766:
	.byte	0                               ; 0x0
	.size	__hip_cuid_f26eaaccbda3b766, 1

	.ident	"AMD clang version 19.0.0git (https://github.com/RadeonOpenCompute/llvm-project roc-6.4.0 25133 c7fe45cf4b819c5991fe208aaa96edf142730f1d)"
	.section	".note.GNU-stack","",@progbits
	.addrsig
	.addrsig_sym __hip_cuid_f26eaaccbda3b766
	.amdgpu_metadata
---
amdhsa.kernels:
  - .args:
      - .actual_access:  read_only
        .address_space:  global
        .offset:         0
        .size:           8
        .value_kind:     global_buffer
      - .offset:         8
        .size:           8
        .value_kind:     by_value
      - .actual_access:  read_only
        .address_space:  global
        .offset:         16
        .size:           8
        .value_kind:     global_buffer
      - .actual_access:  read_only
        .address_space:  global
        .offset:         24
        .size:           8
        .value_kind:     global_buffer
      - .offset:         32
        .size:           8
        .value_kind:     by_value
      - .actual_access:  read_only
        .address_space:  global
        .offset:         40
        .size:           8
        .value_kind:     global_buffer
      - .actual_access:  read_only
        .address_space:  global
        .offset:         48
        .size:           8
        .value_kind:     global_buffer
      - .offset:         56
        .size:           4
        .value_kind:     by_value
      - .actual_access:  read_only
        .address_space:  global
        .offset:         64
        .size:           8
        .value_kind:     global_buffer
      - .actual_access:  read_only
        .address_space:  global
        .offset:         72
        .size:           8
        .value_kind:     global_buffer
      - .address_space:  global
        .offset:         80
        .size:           8
        .value_kind:     global_buffer
    .group_segment_fixed_size: 0
    .kernarg_segment_align: 8
    .kernarg_segment_size: 88
    .language:       OpenCL C
    .language_version:
      - 2
      - 0
    .max_flat_workgroup_size: 182
    .name:           fft_rtc_back_len2002_factors_2_13_7_11_wgs_182_tpt_182_halfLds_dp_ip_CI_unitstride_sbrr_R2C_dirReg
    .private_segment_fixed_size: 36
    .sgpr_count:     50
    .sgpr_spill_count: 0
    .symbol:         fft_rtc_back_len2002_factors_2_13_7_11_wgs_182_tpt_182_halfLds_dp_ip_CI_unitstride_sbrr_R2C_dirReg.kd
    .uniform_work_group_size: 1
    .uses_dynamic_stack: false
    .vgpr_count:     255
    .vgpr_spill_count: 8
    .wavefront_size: 32
    .workgroup_processor_mode: 1
amdhsa.target:   amdgcn-amd-amdhsa--gfx1030
amdhsa.version:
  - 1
  - 2
...

	.end_amdgpu_metadata
